;; amdgpu-corpus repo=ROCm/rocFFT kind=compiled arch=gfx1030 opt=O3
	.text
	.amdgcn_target "amdgcn-amd-amdhsa--gfx1030"
	.amdhsa_code_object_version 6
	.protected	fft_rtc_fwd_len3000_factors_10_3_10_10_wgs_100_tpt_100_halfLds_dp_op_CI_CI_sbrr_dirReg ; -- Begin function fft_rtc_fwd_len3000_factors_10_3_10_10_wgs_100_tpt_100_halfLds_dp_op_CI_CI_sbrr_dirReg
	.globl	fft_rtc_fwd_len3000_factors_10_3_10_10_wgs_100_tpt_100_halfLds_dp_op_CI_CI_sbrr_dirReg
	.p2align	8
	.type	fft_rtc_fwd_len3000_factors_10_3_10_10_wgs_100_tpt_100_halfLds_dp_op_CI_CI_sbrr_dirReg,@function
fft_rtc_fwd_len3000_factors_10_3_10_10_wgs_100_tpt_100_halfLds_dp_op_CI_CI_sbrr_dirReg: ; @fft_rtc_fwd_len3000_factors_10_3_10_10_wgs_100_tpt_100_halfLds_dp_op_CI_CI_sbrr_dirReg
; %bb.0:
	s_clause 0x2
	s_load_dwordx4 s[16:19], s[4:5], 0x18
	s_load_dwordx4 s[12:15], s[4:5], 0x0
	;; [unrolled: 1-line block ×3, first 2 shown]
	s_mov_b64 s[38:39], s[2:3]
	s_mov_b64 s[36:37], s[0:1]
	v_mul_u32_u24_e32 v2, 0x290, v0
	v_mov_b32_e32 v1, 0
	v_mov_b32_e32 v4, 0
	v_mov_b32_e32 v5, 0
	s_add_u32 s36, s36, s7
	v_add_nc_u32_sdwa v6, s6, v2 dst_sel:DWORD dst_unused:UNUSED_PAD src0_sel:DWORD src1_sel:WORD_1
	v_mov_b32_e32 v7, v1
	s_addc_u32 s37, s37, 0
	s_waitcnt lgkmcnt(0)
	s_load_dwordx2 s[20:21], s[16:17], 0x0
	s_load_dwordx2 s[2:3], s[18:19], 0x0
	v_cmp_lt_u64_e64 s0, s[14:15], 2
	s_and_b32 vcc_lo, exec_lo, s0
	s_cbranch_vccnz .LBB0_8
; %bb.1:
	s_load_dwordx2 s[0:1], s[4:5], 0x10
	v_mov_b32_e32 v4, 0
	v_mov_b32_e32 v5, 0
	s_add_u32 s6, s18, 8
	s_addc_u32 s7, s19, 0
	s_add_u32 s22, s16, 8
	s_addc_u32 s23, s17, 0
	v_mov_b32_e32 v165, v5
	v_mov_b32_e32 v164, v4
	s_mov_b64 s[26:27], 1
	s_waitcnt lgkmcnt(0)
	s_add_u32 s24, s0, 8
	s_addc_u32 s25, s1, 0
.LBB0_2:                                ; =>This Inner Loop Header: Depth=1
	s_load_dwordx2 s[28:29], s[24:25], 0x0
                                        ; implicit-def: $vgpr166_vgpr167
	s_mov_b32 s0, exec_lo
	s_waitcnt lgkmcnt(0)
	v_or_b32_e32 v2, s29, v7
	v_cmpx_ne_u64_e32 0, v[1:2]
	s_xor_b32 s1, exec_lo, s0
	s_cbranch_execz .LBB0_4
; %bb.3:                                ;   in Loop: Header=BB0_2 Depth=1
	v_cvt_f32_u32_e32 v2, s28
	v_cvt_f32_u32_e32 v3, s29
	s_sub_u32 s0, 0, s28
	s_subb_u32 s30, 0, s29
	v_fmac_f32_e32 v2, 0x4f800000, v3
	v_rcp_f32_e32 v2, v2
	v_mul_f32_e32 v2, 0x5f7ffffc, v2
	v_mul_f32_e32 v3, 0x2f800000, v2
	v_trunc_f32_e32 v3, v3
	v_fmac_f32_e32 v2, 0xcf800000, v3
	v_cvt_u32_f32_e32 v3, v3
	v_cvt_u32_f32_e32 v2, v2
	v_mul_lo_u32 v8, s0, v3
	v_mul_hi_u32 v9, s0, v2
	v_mul_lo_u32 v10, s30, v2
	v_add_nc_u32_e32 v8, v9, v8
	v_mul_lo_u32 v9, s0, v2
	v_add_nc_u32_e32 v8, v8, v10
	v_mul_hi_u32 v10, v2, v9
	v_mul_lo_u32 v11, v2, v8
	v_mul_hi_u32 v12, v2, v8
	v_mul_hi_u32 v13, v3, v9
	v_mul_lo_u32 v9, v3, v9
	v_mul_hi_u32 v14, v3, v8
	v_mul_lo_u32 v8, v3, v8
	v_add_co_u32 v10, vcc_lo, v10, v11
	v_add_co_ci_u32_e32 v11, vcc_lo, 0, v12, vcc_lo
	v_add_co_u32 v9, vcc_lo, v10, v9
	v_add_co_ci_u32_e32 v9, vcc_lo, v11, v13, vcc_lo
	v_add_co_ci_u32_e32 v10, vcc_lo, 0, v14, vcc_lo
	v_add_co_u32 v8, vcc_lo, v9, v8
	v_add_co_ci_u32_e32 v9, vcc_lo, 0, v10, vcc_lo
	v_add_co_u32 v2, vcc_lo, v2, v8
	v_add_co_ci_u32_e32 v3, vcc_lo, v3, v9, vcc_lo
	v_mul_hi_u32 v8, s0, v2
	v_mul_lo_u32 v10, s30, v2
	v_mul_lo_u32 v9, s0, v3
	v_add_nc_u32_e32 v8, v8, v9
	v_mul_lo_u32 v9, s0, v2
	v_add_nc_u32_e32 v8, v8, v10
	v_mul_hi_u32 v10, v2, v9
	v_mul_lo_u32 v11, v2, v8
	v_mul_hi_u32 v12, v2, v8
	v_mul_hi_u32 v13, v3, v9
	v_mul_lo_u32 v9, v3, v9
	v_mul_hi_u32 v14, v3, v8
	v_mul_lo_u32 v8, v3, v8
	v_add_co_u32 v10, vcc_lo, v10, v11
	v_add_co_ci_u32_e32 v11, vcc_lo, 0, v12, vcc_lo
	v_add_co_u32 v9, vcc_lo, v10, v9
	v_add_co_ci_u32_e32 v9, vcc_lo, v11, v13, vcc_lo
	v_add_co_ci_u32_e32 v10, vcc_lo, 0, v14, vcc_lo
	v_add_co_u32 v8, vcc_lo, v9, v8
	v_add_co_ci_u32_e32 v9, vcc_lo, 0, v10, vcc_lo
	v_add_co_u32 v8, vcc_lo, v2, v8
	v_add_co_ci_u32_e32 v10, vcc_lo, v3, v9, vcc_lo
	v_mul_hi_u32 v12, v6, v8
	v_mad_u64_u32 v[8:9], null, v7, v8, 0
	v_mad_u64_u32 v[2:3], null, v6, v10, 0
	;; [unrolled: 1-line block ×3, first 2 shown]
	v_add_co_u32 v2, vcc_lo, v12, v2
	v_add_co_ci_u32_e32 v3, vcc_lo, 0, v3, vcc_lo
	v_add_co_u32 v2, vcc_lo, v2, v8
	v_add_co_ci_u32_e32 v2, vcc_lo, v3, v9, vcc_lo
	v_add_co_ci_u32_e32 v3, vcc_lo, 0, v11, vcc_lo
	v_add_co_u32 v8, vcc_lo, v2, v10
	v_add_co_ci_u32_e32 v9, vcc_lo, 0, v3, vcc_lo
	v_mul_lo_u32 v10, s29, v8
	v_mad_u64_u32 v[2:3], null, s28, v8, 0
	v_mul_lo_u32 v11, s28, v9
	v_sub_co_u32 v2, vcc_lo, v6, v2
	v_add3_u32 v3, v3, v11, v10
	v_sub_nc_u32_e32 v10, v7, v3
	v_subrev_co_ci_u32_e64 v10, s0, s29, v10, vcc_lo
	v_add_co_u32 v11, s0, v8, 2
	v_add_co_ci_u32_e64 v12, s0, 0, v9, s0
	v_sub_co_u32 v13, s0, v2, s28
	v_sub_co_ci_u32_e32 v3, vcc_lo, v7, v3, vcc_lo
	v_subrev_co_ci_u32_e64 v10, s0, 0, v10, s0
	v_cmp_le_u32_e32 vcc_lo, s28, v13
	v_cmp_eq_u32_e64 s0, s29, v3
	v_cndmask_b32_e64 v13, 0, -1, vcc_lo
	v_cmp_le_u32_e32 vcc_lo, s29, v10
	v_cndmask_b32_e64 v14, 0, -1, vcc_lo
	v_cmp_le_u32_e32 vcc_lo, s28, v2
	;; [unrolled: 2-line block ×3, first 2 shown]
	v_cndmask_b32_e64 v15, 0, -1, vcc_lo
	v_cmp_eq_u32_e32 vcc_lo, s29, v10
	v_cndmask_b32_e64 v2, v15, v2, s0
	v_cndmask_b32_e32 v10, v14, v13, vcc_lo
	v_add_co_u32 v13, vcc_lo, v8, 1
	v_add_co_ci_u32_e32 v14, vcc_lo, 0, v9, vcc_lo
	v_cmp_ne_u32_e32 vcc_lo, 0, v10
	v_cndmask_b32_e32 v3, v14, v12, vcc_lo
	v_cndmask_b32_e32 v10, v13, v11, vcc_lo
	v_cmp_ne_u32_e32 vcc_lo, 0, v2
	v_cndmask_b32_e32 v167, v9, v3, vcc_lo
	v_cndmask_b32_e32 v166, v8, v10, vcc_lo
.LBB0_4:                                ;   in Loop: Header=BB0_2 Depth=1
	s_andn2_saveexec_b32 s0, s1
	s_cbranch_execz .LBB0_6
; %bb.5:                                ;   in Loop: Header=BB0_2 Depth=1
	v_cvt_f32_u32_e32 v2, s28
	s_sub_i32 s1, 0, s28
	v_mov_b32_e32 v167, v1
	v_rcp_iflag_f32_e32 v2, v2
	v_mul_f32_e32 v2, 0x4f7ffffe, v2
	v_cvt_u32_f32_e32 v2, v2
	v_mul_lo_u32 v3, s1, v2
	v_mul_hi_u32 v3, v2, v3
	v_add_nc_u32_e32 v2, v2, v3
	v_mul_hi_u32 v2, v6, v2
	v_mul_lo_u32 v3, v2, s28
	v_add_nc_u32_e32 v8, 1, v2
	v_sub_nc_u32_e32 v3, v6, v3
	v_subrev_nc_u32_e32 v9, s28, v3
	v_cmp_le_u32_e32 vcc_lo, s28, v3
	v_cndmask_b32_e32 v3, v3, v9, vcc_lo
	v_cndmask_b32_e32 v2, v2, v8, vcc_lo
	v_cmp_le_u32_e32 vcc_lo, s28, v3
	v_add_nc_u32_e32 v8, 1, v2
	v_cndmask_b32_e32 v166, v2, v8, vcc_lo
.LBB0_6:                                ;   in Loop: Header=BB0_2 Depth=1
	s_or_b32 exec_lo, exec_lo, s0
	v_mul_lo_u32 v8, v167, s28
	v_mul_lo_u32 v9, v166, s29
	s_load_dwordx2 s[0:1], s[22:23], 0x0
	v_mad_u64_u32 v[2:3], null, v166, s28, 0
	s_load_dwordx2 s[28:29], s[6:7], 0x0
	s_add_u32 s26, s26, 1
	s_addc_u32 s27, s27, 0
	s_add_u32 s6, s6, 8
	s_addc_u32 s7, s7, 0
	s_add_u32 s22, s22, 8
	v_add3_u32 v3, v3, v9, v8
	v_sub_co_u32 v2, vcc_lo, v6, v2
	s_addc_u32 s23, s23, 0
	s_add_u32 s24, s24, 8
	v_sub_co_ci_u32_e32 v3, vcc_lo, v7, v3, vcc_lo
	s_addc_u32 s25, s25, 0
	s_waitcnt lgkmcnt(0)
	v_mul_lo_u32 v6, s0, v3
	v_mul_lo_u32 v7, s1, v2
	v_mad_u64_u32 v[4:5], null, s0, v2, v[4:5]
	v_mul_lo_u32 v3, s28, v3
	v_mul_lo_u32 v8, s29, v2
	v_mad_u64_u32 v[164:165], null, s28, v2, v[164:165]
	v_cmp_ge_u64_e64 s0, s[26:27], s[14:15]
	v_add3_u32 v5, v7, v5, v6
	v_add3_u32 v165, v8, v165, v3
	s_and_b32 vcc_lo, exec_lo, s0
	s_cbranch_vccnz .LBB0_9
; %bb.7:                                ;   in Loop: Header=BB0_2 Depth=1
	v_mov_b32_e32 v6, v166
	v_mov_b32_e32 v7, v167
	s_branch .LBB0_2
.LBB0_8:
	v_mov_b32_e32 v165, v5
	v_mov_b32_e32 v167, v7
	;; [unrolled: 1-line block ×4, first 2 shown]
.LBB0_9:
	s_load_dwordx2 s[0:1], s[4:5], 0x28
	v_mul_hi_u32 v1, 0x28f5c29, v0
	s_lshl_b64 s[4:5], s[14:15], 3
                                        ; implicit-def: $vgpr208
                                        ; implicit-def: $vgpr209
                                        ; implicit-def: $vgpr210
                                        ; implicit-def: $vgpr122
                                        ; implicit-def: $vgpr124
                                        ; implicit-def: $vgpr126
                                        ; implicit-def: $vgpr121
                                        ; implicit-def: $vgpr123
                                        ; implicit-def: $vgpr125
                                        ; implicit-def: $vgpr120
	s_add_u32 s18, s18, s4
	s_addc_u32 s19, s19, s5
	s_waitcnt lgkmcnt(0)
	v_cmp_gt_u64_e32 vcc_lo, s[0:1], v[166:167]
	v_cmp_le_u64_e64 s0, s[0:1], v[166:167]
	s_and_saveexec_b32 s1, s0
	s_xor_b32 s0, exec_lo, s1
; %bb.10:
	v_mul_u32_u24_e32 v1, 0x64, v1
                                        ; implicit-def: $vgpr4_vgpr5
	v_sub_nc_u32_e32 v208, v0, v1
                                        ; implicit-def: $vgpr1
                                        ; implicit-def: $vgpr0
	v_add_nc_u32_e32 v209, 0x64, v208
	v_add_nc_u32_e32 v210, 0xc8, v208
	;; [unrolled: 1-line block ×9, first 2 shown]
; %bb.11:
	s_or_saveexec_b32 s1, s0
                                        ; implicit-def: $vgpr2_vgpr3
                                        ; implicit-def: $vgpr26_vgpr27
                                        ; implicit-def: $vgpr10_vgpr11
                                        ; implicit-def: $vgpr30_vgpr31
                                        ; implicit-def: $vgpr18_vgpr19
                                        ; implicit-def: $vgpr38_vgpr39
                                        ; implicit-def: $vgpr14_vgpr15
                                        ; implicit-def: $vgpr34_vgpr35
                                        ; implicit-def: $vgpr22_vgpr23
                                        ; implicit-def: $vgpr6_vgpr7
                                        ; implicit-def: $vgpr42_vgpr43
                                        ; implicit-def: $vgpr50_vgpr51
                                        ; implicit-def: $vgpr66_vgpr67
                                        ; implicit-def: $vgpr54_vgpr55
                                        ; implicit-def: $vgpr70_vgpr71
                                        ; implicit-def: $vgpr62_vgpr63
                                        ; implicit-def: $vgpr78_vgpr79
                                        ; implicit-def: $vgpr58_vgpr59
                                        ; implicit-def: $vgpr74_vgpr75
                                        ; implicit-def: $vgpr46_vgpr47
                                        ; implicit-def: $vgpr82_vgpr83
                                        ; implicit-def: $vgpr86_vgpr87
                                        ; implicit-def: $vgpr90_vgpr91
                                        ; implicit-def: $vgpr94_vgpr95
                                        ; implicit-def: $vgpr98_vgpr99
                                        ; implicit-def: $vgpr102_vgpr103
                                        ; implicit-def: $vgpr114_vgpr115
                                        ; implicit-def: $vgpr118_vgpr119
                                        ; implicit-def: $vgpr110_vgpr111
                                        ; implicit-def: $vgpr106_vgpr107
	s_xor_b32 exec_lo, exec_lo, s1
	s_cbranch_execz .LBB0_13
; %bb.12:
	s_add_u32 s4, s16, s4
	s_addc_u32 s5, s17, s5
	v_mul_u32_u24_e32 v1, 0x64, v1
	s_load_dwordx2 s[4:5], s[4:5], 0x0
	v_lshlrev_b64 v[2:3], 4, v[4:5]
	v_sub_nc_u32_e32 v208, v0, v1
	v_add_nc_u32_e32 v122, 0x12c, v208
	v_add_nc_u32_e32 v121, 0x258, v208
	v_mad_u64_u32 v[0:1], null, s20, v208, 0
	v_add_nc_u32_e32 v120, 0x384, v208
	v_mad_u64_u32 v[4:5], null, s20, v122, 0
	v_mad_u64_u32 v[6:7], null, s20, v121, 0
	v_add_nc_u32_e32 v18, 0x4b0, v208
	v_mad_u64_u32 v[10:11], null, s21, v208, v[1:2]
	s_waitcnt lgkmcnt(0)
	v_mul_lo_u32 v13, s5, v166
	v_mul_lo_u32 v14, s4, v167
	v_mad_u64_u32 v[8:9], null, s4, v166, 0
	v_mov_b32_e32 v1, v5
	v_mad_u64_u32 v[11:12], null, s20, v120, 0
	v_mov_b32_e32 v5, v7
	v_add_nc_u32_e32 v22, 0x834, v208
	v_add_nc_u32_e32 v24, 0x960, v208
	v_add3_u32 v9, v9, v14, v13
	v_mad_u64_u32 v[13:14], null, s21, v122, v[1:2]
	v_mov_b32_e32 v1, v10
	v_mad_u64_u32 v[14:15], null, s20, v18, 0
	v_lshlrev_b64 v[7:8], 4, v[8:9]
	v_mad_u64_u32 v[9:10], null, s21, v121, v[5:6]
	v_mov_b32_e32 v10, v12
	v_mov_b32_e32 v5, v13
	v_lshlrev_b64 v[0:1], 4, v[0:1]
	v_add_co_u32 v12, s0, s8, v7
	v_add_co_ci_u32_e64 v8, s0, s9, v8, s0
	v_mov_b32_e32 v7, v9
	v_add_co_u32 v20, s0, v12, v2
	v_add_co_ci_u32_e64 v21, s0, v8, v3, s0
	v_lshlrev_b64 v[2:3], 4, v[4:5]
	v_mad_u64_u32 v[4:5], null, s21, v120, v[10:11]
	v_add_nc_u32_e32 v10, 0x5dc, v208
	v_lshlrev_b64 v[5:6], 4, v[6:7]
	v_mov_b32_e32 v7, v15
	v_add_co_u32 v0, s0, v20, v0
	v_mad_u64_u32 v[16:17], null, s20, v10, 0
	v_add_co_ci_u32_e64 v1, s0, v21, v1, s0
	v_mov_b32_e32 v12, v4
	v_mad_u64_u32 v[7:8], null, s21, v18, v[7:8]
	v_add_co_u32 v2, s0, v20, v2
	v_add_nc_u32_e32 v18, 0x708, v208
	v_add_co_ci_u32_e64 v3, s0, v21, v3, s0
	v_add_co_u32 v4, s0, v20, v5
	v_lshlrev_b64 v[8:9], 4, v[11:12]
	v_add_co_ci_u32_e64 v5, s0, v21, v6, s0
	v_mov_b32_e32 v6, v17
	v_mad_u64_u32 v[12:13], null, s20, v18, 0
	v_mov_b32_e32 v15, v7
	v_add_nc_u32_e32 v26, 0xa8c, v208
	v_mad_u64_u32 v[10:11], null, s21, v10, v[6:7]
	v_add_co_u32 v6, s0, v20, v8
	v_add_co_ci_u32_e64 v7, s0, v21, v9, s0
	v_lshlrev_b64 v[8:9], 4, v[14:15]
	v_mad_u64_u32 v[14:15], null, s20, v22, 0
	v_mov_b32_e32 v11, v13
	v_mov_b32_e32 v17, v10
	v_add_nc_u32_e32 v209, 0x64, v208
	v_add_co_u32 v8, s0, v20, v8
	v_mad_u64_u32 v[10:11], null, s21, v18, v[11:12]
	v_mov_b32_e32 v11, v15
	v_mad_u64_u32 v[18:19], null, s20, v24, 0
	v_lshlrev_b64 v[16:17], 4, v[16:17]
	v_add_co_ci_u32_e64 v9, s0, v21, v9, s0
	v_mad_u64_u32 v[22:23], null, s21, v22, v[11:12]
	v_mov_b32_e32 v13, v10
	v_add_co_u32 v10, s0, v20, v16
	v_mov_b32_e32 v16, v19
	v_add_co_ci_u32_e64 v11, s0, v21, v17, s0
	v_mov_b32_e32 v15, v22
	v_mad_u64_u32 v[22:23], null, s20, v26, 0
	v_mad_u64_u32 v[16:17], null, s21, v24, v[16:17]
	v_mad_u64_u32 v[24:25], null, s20, v209, 0
	v_lshlrev_b64 v[12:13], 4, v[12:13]
	v_add_nc_u32_e32 v124, 0x190, v208
	v_mov_b32_e32 v17, v23
	v_lshlrev_b64 v[14:15], 4, v[14:15]
	v_mov_b32_e32 v19, v16
	v_add_nc_u32_e32 v123, 0x2bc, v208
	v_add_co_u32 v12, s0, v20, v12
	v_mad_u64_u32 v[16:17], null, s21, v26, v[17:18]
	v_lshlrev_b64 v[17:18], 4, v[18:19]
	v_mov_b32_e32 v19, v25
	v_mad_u64_u32 v[26:27], null, s20, v124, 0
	v_add_co_ci_u32_e64 v13, s0, v21, v13, s0
	v_mad_u64_u32 v[28:29], null, s21, v209, v[19:20]
	v_add_co_u32 v14, s0, v20, v14
	v_mov_b32_e32 v23, v16
	v_add_co_ci_u32_e64 v15, s0, v21, v15, s0
	v_add_co_u32 v16, s0, v20, v17
	v_mov_b32_e32 v25, v28
	v_mad_u64_u32 v[28:29], null, s20, v123, 0
	v_add_co_ci_u32_e64 v17, s0, v21, v18, s0
	v_lshlrev_b64 v[18:19], 4, v[22:23]
	v_mov_b32_e32 v22, v27
	v_add_nc_u32_e32 v34, 0x3e8, v208
	v_add_nc_u32_e32 v36, 0x514, v208
	v_add_nc_u32_e32 v38, 0x640, v208
	v_add_nc_u32_e32 v40, 0x76c, v208
	v_mad_u64_u32 v[22:23], null, s21, v124, v[22:23]
	v_lshlrev_b64 v[23:24], 4, v[24:25]
	v_mov_b32_e32 v25, v29
	v_mad_u64_u32 v[30:31], null, s20, v34, 0
	v_add_co_u32 v18, s0, v20, v18
	v_mad_u64_u32 v[32:33], null, s21, v123, v[25:26]
	v_mov_b32_e32 v27, v22
	v_add_co_ci_u32_e64 v19, s0, v21, v19, s0
	v_add_co_u32 v22, s0, v20, v23
	v_add_co_ci_u32_e64 v23, s0, v21, v24, s0
	v_mov_b32_e32 v29, v32
	v_mad_u64_u32 v[32:33], null, s20, v36, 0
	v_lshlrev_b64 v[24:25], 4, v[26:27]
	v_mov_b32_e32 v26, v31
	v_add_nc_u32_e32 v42, 0x898, v208
	v_add_nc_u32_e32 v44, 0x9c4, v208
	v_add_nc_u32_e32 v46, 0xaf0, v208
	v_add_nc_u32_e32 v210, 0xc8, v208
	v_mad_u64_u32 v[26:27], null, s21, v34, v[26:27]
	v_lshlrev_b64 v[27:28], 4, v[28:29]
	v_mov_b32_e32 v29, v33
	v_mad_u64_u32 v[34:35], null, s20, v38, 0
	v_add_co_u32 v24, s0, v20, v24
	v_mad_u64_u32 v[36:37], null, s21, v36, v[29:30]
	v_mov_b32_e32 v31, v26
	v_add_co_ci_u32_e64 v25, s0, v21, v25, s0
	v_add_co_u32 v26, s0, v20, v27
	v_add_co_ci_u32_e64 v27, s0, v21, v28, s0
	v_mov_b32_e32 v33, v36
	v_mad_u64_u32 v[36:37], null, s20, v40, 0
	;; [unrolled: 18-line block ×3, first 2 shown]
	v_lshlrev_b64 v[32:33], 4, v[34:35]
	v_mov_b32_e32 v34, v39
	v_mad_u64_u32 v[50:51], null, s20, v54, 0
	v_add_nc_u32_e32 v57, 0x6a4, v208
	v_add_nc_u32_e32 v58, 0x7d0, v208
	v_mad_u64_u32 v[34:35], null, s21, v42, v[34:35]
	v_lshlrev_b64 v[35:36], 4, v[36:37]
	v_mov_b32_e32 v37, v41
	v_mad_u64_u32 v[42:43], null, s20, v46, 0
	v_add_co_u32 v32, s0, v20, v32
	v_mad_u64_u32 v[44:45], null, s21, v44, v[37:38]
	v_mov_b32_e32 v39, v34
	v_add_co_ci_u32_e64 v33, s0, v21, v33, s0
	v_add_co_u32 v34, s0, v20, v35
	v_add_co_ci_u32_e64 v35, s0, v21, v36, s0
	v_mov_b32_e32 v41, v44
	v_mad_u64_u32 v[44:45], null, s20, v210, 0
	v_lshlrev_b64 v[36:37], 4, v[38:39]
	v_mov_b32_e32 v38, v43
	v_lshlrev_b64 v[40:41], 4, v[40:41]
	v_mad_u64_u32 v[38:39], null, s21, v46, v[38:39]
	v_mov_b32_e32 v39, v45
	v_mad_u64_u32 v[46:47], null, s20, v126, 0
	v_add_co_u32 v36, s0, v20, v36
	v_mad_u64_u32 v[48:49], null, s21, v210, v[39:40]
	v_mov_b32_e32 v43, v38
	v_add_co_ci_u32_e64 v37, s0, v21, v37, s0
	v_add_co_u32 v38, s0, v20, v40
	v_add_co_ci_u32_e64 v39, s0, v21, v41, s0
	v_lshlrev_b64 v[40:41], 4, v[42:43]
	v_mov_b32_e32 v42, v47
	v_mov_b32_e32 v45, v48
	v_mad_u64_u32 v[48:49], null, s20, v125, 0
	v_mad_u64_u32 v[42:43], null, s21, v126, v[42:43]
	v_lshlrev_b64 v[43:44], 4, v[44:45]
	v_add_co_u32 v40, s0, v20, v40
	v_mov_b32_e32 v45, v49
	v_add_co_ci_u32_e64 v41, s0, v21, v41, s0
	v_mov_b32_e32 v47, v42
	v_mov_b32_e32 v42, v51
	v_mad_u64_u32 v[51:52], null, s21, v125, v[45:46]
	v_mad_u64_u32 v[52:53], null, s20, v56, 0
	;; [unrolled: 1-line block ×3, first 2 shown]
	v_add_co_u32 v127, s0, v20, v43
	v_add_co_ci_u32_e64 v128, s0, v21, v44, s0
	v_lshlrev_b64 v[42:43], 4, v[46:47]
	v_mov_b32_e32 v44, v53
	v_mov_b32_e32 v49, v51
	;; [unrolled: 1-line block ×3, first 2 shown]
	v_mad_u64_u32 v[54:55], null, s20, v58, 0
	v_mad_u64_u32 v[44:45], null, s21, v56, v[44:45]
	;; [unrolled: 1-line block ×3, first 2 shown]
	v_add_co_u32 v129, s0, v20, v42
	v_add_co_ci_u32_e64 v130, s0, v21, v43, s0
	v_lshlrev_b64 v[42:43], 4, v[48:49]
	v_lshlrev_b64 v[47:48], 4, v[50:51]
	v_mov_b32_e32 v49, v55
	v_mov_b32_e32 v53, v44
	v_add_nc_u32_e32 v44, 0x8fc, v208
	v_add_co_u32 v131, s0, v20, v42
	v_mad_u64_u32 v[50:51], null, s21, v57, v[46:47]
	v_add_co_ci_u32_e64 v132, s0, v21, v43, s0
	v_mad_u64_u32 v[42:43], null, s20, v44, 0
	v_lshlrev_b64 v[51:52], 4, v[52:53]
	v_add_nc_u32_e32 v53, 0xb54, v208
	v_mad_u64_u32 v[55:56], null, s21, v58, v[49:50]
	v_add_nc_u32_e32 v58, 0xa28, v208
	v_mov_b32_e32 v46, v50
	v_add_co_u32 v133, s0, v20, v47
	v_add_co_ci_u32_e64 v134, s0, v21, v48, s0
	v_mad_u64_u32 v[56:57], null, s20, v58, 0
	v_mad_u64_u32 v[47:48], null, s20, v53, 0
	;; [unrolled: 1-line block ×3, first 2 shown]
	v_lshlrev_b64 v[45:46], 4, v[45:46]
	v_add_co_u32 v135, s0, v20, v51
	v_mov_b32_e32 v44, v57
	v_add_co_ci_u32_e64 v136, s0, v21, v52, s0
	v_add_co_u32 v137, s0, v20, v45
	v_mad_u64_u32 v[51:52], null, s21, v58, v[44:45]
	v_mov_b32_e32 v44, v48
	v_lshlrev_b64 v[49:50], 4, v[54:55]
	v_lshlrev_b64 v[42:43], 4, v[42:43]
	v_add_co_ci_u32_e64 v138, s0, v21, v46, s0
	v_mad_u64_u32 v[44:45], null, s21, v53, v[44:45]
	v_mov_b32_e32 v57, v51
	v_add_co_u32 v139, s0, v20, v49
	v_add_co_ci_u32_e64 v140, s0, v21, v50, s0
	v_lshlrev_b64 v[45:46], 4, v[56:57]
	v_mov_b32_e32 v48, v44
	v_add_co_u32 v141, s0, v20, v42
	v_add_co_ci_u32_e64 v142, s0, v21, v43, s0
	v_lshlrev_b64 v[42:43], 4, v[47:48]
	v_add_co_u32 v143, s0, v20, v45
	v_add_co_ci_u32_e64 v144, s0, v21, v46, s0
	v_add_co_u32 v145, s0, v20, v42
	v_add_co_ci_u32_e64 v146, s0, v21, v43, s0
	s_clause 0x1d
	global_load_dwordx4 v[104:107], v[0:1], off
	global_load_dwordx4 v[108:111], v[2:3], off
	;; [unrolled: 1-line block ×30, first 2 shown]
.LBB0_13:
	s_or_b32 exec_lo, exec_lo, s1
	s_waitcnt vmcnt(20)
	v_add_f64 v[127:128], v[80:81], v[112:113]
	v_add_f64 v[135:136], v[88:89], v[96:97]
	v_add_f64 v[159:160], v[98:99], -v[90:91]
	v_add_f64 v[161:162], v[90:91], v[98:99]
	v_add_f64 v[168:169], v[82:83], v[114:115]
	v_add_f64 v[176:177], v[114:115], -v[82:83]
	s_mov_b32 s0, 0x134454ff
	s_mov_b32 s1, 0x3fee6f0e
	;; [unrolled: 1-line block ×4, first 2 shown]
	v_add_f64 v[129:130], v[92:93], v[100:101]
	v_add_f64 v[131:132], v[84:85], v[116:117]
	;; [unrolled: 1-line block ×6, first 2 shown]
	v_add_f64 v[145:146], v[116:117], -v[100:101]
	v_add_f64 v[155:156], v[84:85], -v[92:93]
	;; [unrolled: 1-line block ×6, first 2 shown]
	v_fma_f64 v[127:128], v[127:128], -0.5, v[108:109]
	v_fma_f64 v[135:136], v[135:136], -0.5, v[108:109]
	v_add_f64 v[108:109], v[112:113], v[108:109]
	v_add_f64 v[182:183], v[114:115], v[110:111]
	v_add_f64 v[184:185], v[96:97], -v[88:89]
	v_add_f64 v[112:113], v[112:113], -v[80:81]
	v_fma_f64 v[168:169], v[168:169], -0.5, v[110:111]
	v_fma_f64 v[110:111], v[161:162], -0.5, v[110:111]
	s_mov_b32 s8, 0x4755a5e
	s_mov_b32 s9, 0x3fe2cf23
	;; [unrolled: 1-line block ×4, first 2 shown]
	v_add_f64 v[143:144], v[118:119], -v[86:87]
	v_add_f64 v[147:148], v[100:101], -v[116:117]
	v_add_f64 v[149:150], v[118:119], -v[102:103]
	v_add_f64 v[118:119], v[102:103], -v[118:119]
	v_add_f64 v[151:152], v[102:103], -v[94:95]
	v_add_f64 v[153:154], v[100:101], -v[92:93]
	v_add_f64 v[157:158], v[92:93], -v[84:85]
	v_add_f64 v[170:171], v[94:95], -v[86:87]
	v_add_f64 v[186:187], v[114:115], -v[98:99]
	v_add_f64 v[114:115], v[98:99], -v[114:115]
	v_fma_f64 v[194:195], v[159:160], s[0:1], v[127:128]
	v_fma_f64 v[161:162], v[176:177], s[4:5], v[135:136]
	v_add_f64 v[190:191], v[82:83], -v[90:91]
	v_add_f64 v[192:193], v[90:91], -v[82:83]
	v_fma_f64 v[135:136], v[176:177], s[0:1], v[135:136]
	v_fma_f64 v[127:128], v[159:160], s[4:5], v[127:128]
	v_fma_f64 v[129:130], v[129:130], -0.5, v[104:105]
	v_fma_f64 v[104:105], v[131:132], -0.5, v[104:105]
	;; [unrolled: 1-line block ×4, first 2 shown]
	v_add_f64 v[100:101], v[100:101], v[139:140]
	v_add_f64 v[133:134], v[180:181], v[178:179]
	v_fma_f64 v[137:138], v[184:185], s[4:5], v[168:169]
	v_add_f64 v[102:103], v[102:103], v[141:142]
	v_add_f64 v[141:142], v[155:156], v[145:146]
	;; [unrolled: 1-line block ×3, first 2 shown]
	v_fma_f64 v[155:156], v[112:113], s[0:1], v[110:111]
	s_mov_b32 s6, 0x372fe950
	s_mov_b32 s7, 0x3fd3c6ef
	v_add_f64 v[116:117], v[116:117], -v[84:85]
	v_add_f64 v[188:189], v[86:87], -v[94:95]
	v_add_f64 v[147:148], v[157:158], v[147:148]
	v_fma_f64 v[139:140], v[176:177], s[16:17], v[194:195]
	v_fma_f64 v[161:162], v[159:160], s[16:17], v[161:162]
	v_add_f64 v[118:119], v[170:171], v[118:119]
	v_fma_f64 v[157:158], v[184:185], s[0:1], v[168:169]
	v_fma_f64 v[135:136], v[159:160], s[8:9], v[135:136]
	;; [unrolled: 1-line block ×3, first 2 shown]
	v_add_f64 v[96:97], v[96:97], v[108:109]
	v_add_f64 v[98:99], v[98:99], v[182:183]
	;; [unrolled: 1-line block ×3, first 2 shown]
	v_fma_f64 v[114:115], v[143:144], s[0:1], v[129:130]
	v_fma_f64 v[129:130], v[143:144], s[4:5], v[129:130]
	;; [unrolled: 1-line block ×7, first 2 shown]
	v_add_f64 v[170:171], v[190:191], v[186:187]
	v_add_f64 v[92:93], v[92:93], v[100:101]
	;; [unrolled: 1-line block ×3, first 2 shown]
	v_fma_f64 v[100:101], v[184:185], s[8:9], v[155:156]
	s_mov_b32 s14, 0x9b97f4a8
	s_mov_b32 s15, 0x3fe9e377
	v_fma_f64 v[139:140], v[133:134], s[6:7], v[139:140]
	v_fma_f64 v[102:103], v[145:146], s[6:7], v[161:162]
	s_waitcnt vmcnt(12)
	v_add_f64 v[196:197], v[64:65], v[68:69]
	s_waitcnt vmcnt(10)
	v_add_f64 v[200:201], v[40:41], v[76:77]
	v_fma_f64 v[110:111], v[112:113], s[4:5], v[110:111]
	v_fma_f64 v[155:156], v[116:117], s[4:5], v[131:132]
	;; [unrolled: 1-line block ×5, first 2 shown]
	v_add_f64 v[88:89], v[88:89], v[96:97]
	v_add_f64 v[90:91], v[90:91], v[98:99]
	v_fma_f64 v[96:97], v[151:152], s[8:9], v[114:115]
	v_fma_f64 v[98:99], v[151:152], s[16:17], v[129:130]
	;; [unrolled: 1-line block ×7, first 2 shown]
	v_add_f64 v[84:85], v[84:85], v[92:93]
	v_add_f64 v[143:144], v[86:87], v[94:95]
	v_fma_f64 v[86:87], v[170:171], s[6:7], v[100:101]
	v_add_f64 v[198:199], v[78:79], -v[42:43]
	v_mul_f64 v[133:134], v[139:140], s[6:7]
	v_mul_f64 v[92:93], v[102:103], s[14:15]
	v_fma_f64 v[135:136], v[145:146], s[6:7], v[135:136]
	v_add_f64 v[145:146], v[188:189], v[149:150]
	v_fma_f64 v[110:111], v[184:185], s[16:17], v[110:111]
	v_fma_f64 v[137:138], v[196:197], -0.5, v[72:73]
	v_fma_f64 v[94:95], v[153:154], s[16:17], v[155:156]
	v_fma_f64 v[108:109], v[108:109], s[6:7], v[112:113]
	v_mul_f64 v[112:113], v[127:128], s[6:7]
	v_add_f64 v[80:81], v[80:81], v[88:89]
	v_add_f64 v[82:83], v[82:83], v[90:91]
	v_mul_f64 v[88:89], v[127:128], s[4:5]
	v_fma_f64 v[90:91], v[141:142], s[6:7], v[96:97]
	v_fma_f64 v[98:99], v[141:142], s[6:7], v[98:99]
	;; [unrolled: 1-line block ×6, first 2 shown]
	v_mul_f64 v[104:105], v[116:117], s[6:7]
	v_add_f64 v[106:107], v[42:43], v[78:79]
	v_fma_f64 v[131:132], v[153:154], s[8:9], v[131:132]
	v_add_f64 v[149:150], v[48:49], v[56:57]
	v_fma_f64 v[129:130], v[116:117], s[0:1], -v[133:134]
	v_add_f64 v[116:117], v[70:71], -v[66:67]
	v_fma_f64 v[133:134], v[200:201], -0.5, v[72:73]
	v_fma_f64 v[141:142], v[86:87], s[8:9], -v[92:93]
	v_add_f64 v[92:93], v[66:67], v[70:71]
	v_fma_f64 v[100:101], v[170:171], s[6:7], v[110:111]
	v_mul_f64 v[110:111], v[135:136], s[14:15]
	v_mul_f64 v[135:136], v[135:136], s[16:17]
	;; [unrolled: 1-line block ×3, first 2 shown]
	v_fma_f64 v[147:148], v[145:146], s[6:7], v[94:95]
	v_add_f64 v[94:95], v[52:53], v[60:61]
	v_fma_f64 v[151:152], v[108:109], s[6:7], v[88:89]
	v_add_f64 v[88:89], v[76:77], -v[68:69]
	v_add_f64 v[153:154], v[68:69], -v[76:77]
	;; [unrolled: 1-line block ×4, first 2 shown]
	v_fma_f64 v[159:160], v[198:199], s[0:1], v[137:138]
	v_fma_f64 v[137:138], v[198:199], s[4:5], v[137:138]
	v_add_f64 v[161:162], v[64:65], -v[40:41]
	v_fma_f64 v[106:107], v[106:107], -0.5, v[74:75]
	v_add_f64 v[168:169], v[76:77], -v[40:41]
	v_fma_f64 v[112:113], v[108:109], s[0:1], v[112:113]
	v_fma_f64 v[139:140], v[139:140], s[4:5], -v[104:105]
	v_fma_f64 v[131:132], v[145:146], s[6:7], v[131:132]
	v_fma_f64 v[170:171], v[116:117], s[4:5], v[133:134]
	;; [unrolled: 1-line block ×3, first 2 shown]
	v_fma_f64 v[172:173], v[92:93], -0.5, v[74:75]
	v_add_f64 v[176:177], v[62:63], -v[54:55]
	v_fma_f64 v[110:111], v[100:101], s[8:9], v[110:111]
	v_fma_f64 v[135:136], v[100:101], s[14:15], v[135:136]
	v_add_f64 v[100:101], v[56:57], v[44:45]
	v_fma_f64 v[145:146], v[102:103], s[16:17], -v[86:87]
	v_add_f64 v[178:179], v[58:59], -v[50:51]
	v_fma_f64 v[102:103], v[94:95], -0.5, v[44:45]
	v_fma_f64 v[44:45], v[149:150], -0.5, v[44:45]
	v_add_f64 v[72:73], v[76:77], v[72:73]
	v_add_f64 v[76:77], v[78:79], -v[70:71]
	v_add_f64 v[104:105], v[70:71], -v[78:79]
	;; [unrolled: 1-line block ×4, first 2 shown]
	v_add_f64 v[157:158], v[157:158], v[88:89]
	v_fma_f64 v[159:160], v[116:117], s[8:9], v[159:160]
	v_fma_f64 v[116:117], v[116:117], s[16:17], v[137:138]
	v_add_f64 v[137:138], v[161:162], v[153:154]
	v_fma_f64 v[153:154], v[155:156], s[0:1], v[106:107]
	v_fma_f64 v[106:107], v[155:156], s[4:5], v[106:107]
	;; [unrolled: 1-line block ×5, first 2 shown]
	v_add_f64 v[92:93], v[80:81], v[84:85]
	v_add_f64 v[86:87], v[84:85], -v[80:81]
	v_fma_f64 v[80:81], v[168:169], s[0:1], v[172:173]
	v_add_f64 v[108:109], v[58:59], v[46:47]
	v_add_f64 v[174:175], v[60:61], v[100:101]
	v_add_f64 v[94:95], v[90:91], v[110:111]
	v_add_f64 v[88:89], v[90:91], -v[110:111]
	v_add_f64 v[90:91], v[96:97], -v[112:113]
	v_add_f64 v[100:101], v[96:97], v[112:113]
	v_add_f64 v[110:111], v[56:57], -v[60:61]
	v_add_f64 v[112:113], v[60:61], -v[56:57]
	;; [unrolled: 1-line block ×3, first 2 shown]
	v_add_f64 v[76:77], v[149:150], v[76:77]
	v_add_f64 v[149:150], v[52:53], -v[48:49]
	v_add_f64 v[68:69], v[68:69], v[72:73]
	v_add_f64 v[180:181], v[180:181], v[104:105]
	v_fma_f64 v[182:183], v[178:179], s[0:1], v[102:103]
	v_fma_f64 v[184:185], v[178:179], s[4:5], v[102:103]
	;; [unrolled: 1-line block ×11, first 2 shown]
	v_add_f64 v[78:79], v[78:79], v[74:75]
	v_fma_f64 v[161:162], v[137:138], s[6:7], v[161:162]
	v_add_f64 v[102:103], v[114:115], v[129:130]
	v_add_f64 v[84:85], v[98:99], v[141:142]
	v_add_f64 v[96:97], v[114:115], -v[129:130]
	v_add_f64 v[98:99], v[98:99], -v[141:142]
	v_add_f64 v[114:115], v[62:63], v[108:109]
	v_add_f64 v[133:134], v[172:173], v[110:111]
	v_add_f64 v[112:113], v[149:150], v[112:113]
	v_add_f64 v[64:65], v[64:65], v[68:69]
	v_add_f64 v[116:117], v[52:53], v[174:175]
	v_fma_f64 v[137:138], v[176:177], s[8:9], v[182:183]
	v_fma_f64 v[141:142], v[176:177], s[16:17], v[184:185]
	v_fma_f64 v[108:109], v[180:181], s[6:7], v[153:154]
	v_fma_f64 v[157:158], v[180:181], s[6:7], v[168:169]
	v_fma_f64 v[149:150], v[178:179], s[8:9], v[186:187]
	v_fma_f64 v[44:45], v[178:179], s[16:17], v[44:45]
	v_fma_f64 v[110:111], v[76:77], s[6:7], v[170:171]
	v_mul_f64 v[155:156], v[159:160], s[14:15]
	v_mul_f64 v[168:169], v[104:105], s[6:7]
	v_fma_f64 v[170:171], v[76:77], s[6:7], v[80:81]
	v_mul_f64 v[172:173], v[106:107], s[14:15]
	v_add_f64 v[129:130], v[70:71], v[78:79]
	v_mul_f64 v[153:154], v[161:162], s[6:7]
	s_waitcnt vmcnt(7)
	v_add_f64 v[174:175], v[32:33], v[4:5]
	v_add_f64 v[176:177], v[34:35], v[6:7]
	;; [unrolled: 1-line block ×4, first 2 shown]
	v_add_f64 v[68:69], v[147:148], -v[135:136]
	v_add_f64 v[70:71], v[127:128], -v[151:152]
	v_add_f64 v[76:77], v[127:128], v[151:152]
	v_add_f64 v[82:83], v[143:144], -v[82:83]
	v_add_f64 v[127:128], v[54:55], v[62:63]
	v_add_f64 v[135:136], v[50:51], v[58:59]
	;; [unrolled: 1-line block ×4, first 2 shown]
	v_fma_f64 v[40:41], v[133:134], s[6:7], v[137:138]
	v_fma_f64 v[147:148], v[112:113], s[6:7], v[149:150]
	;; [unrolled: 1-line block ×5, first 2 shown]
	v_fma_f64 v[151:152], v[157:158], s[0:1], -v[168:169]
	v_add_f64 v[116:117], v[48:49], v[116:117]
	v_fma_f64 v[141:142], v[170:171], s[8:9], -v[172:173]
	v_add_f64 v[129:130], v[66:67], v[129:130]
	v_fma_f64 v[149:150], v[108:109], s[0:1], v[153:154]
	s_waitcnt vmcnt(5)
	v_add_f64 v[153:154], v[36:37], v[174:175]
	v_add_f64 v[155:156], v[38:39], v[176:177]
	;; [unrolled: 1-line block ×4, first 2 shown]
	v_add_f64 v[64:65], v[118:119], -v[139:140]
	v_add_f64 v[66:67], v[131:132], -v[145:146]
	;; [unrolled: 1-line block ×8, first 2 shown]
	v_add_f64 v[114:115], v[50:51], v[114:115]
	v_fma_f64 v[127:128], v[127:128], -0.5, v[46:47]
	v_fma_f64 v[135:136], v[135:136], -0.5, v[46:47]
	s_waitcnt vmcnt(0)
	v_add_f64 v[172:173], v[2:3], v[14:15]
	v_add_f64 v[46:47], v[40:41], v[137:138]
	v_add_f64 v[40:41], v[40:41], -v[137:138]
	v_add_f64 v[50:51], v[112:113], v[151:152]
	v_add_f64 v[52:53], v[133:134], v[141:142]
	;; [unrolled: 1-line block ×3, first 2 shown]
	v_add_f64 v[56:57], v[112:113], -v[151:152]
	v_add_f64 v[112:113], v[12:13], v[20:21]
	v_add_f64 v[58:59], v[133:134], -v[141:142]
	v_add_f64 v[133:134], v[0:1], v[12:13]
	v_add_f64 v[129:130], v[42:43], v[129:130]
	;; [unrolled: 1-line block ×3, first 2 shown]
	v_add_f64 v[42:43], v[147:148], -v[149:150]
	v_add_f64 v[48:49], v[147:148], v[149:150]
	v_add_f64 v[54:55], v[116:117], -v[143:144]
	v_add_f64 v[116:117], v[28:29], v[153:154]
	v_add_f64 v[143:144], v[30:31], v[155:156]
	;; [unrolled: 1-line block ×6, first 2 shown]
	v_add_f64 v[184:185], v[18:19], -v[10:11]
	v_add_f64 v[182:183], v[14:15], -v[2:3]
	;; [unrolled: 1-line block ×5, first 2 shown]
	v_add_f64 v[155:156], v[30:31], v[38:39]
	v_fma_f64 v[137:138], v[137:138], -0.5, v[20:21]
	v_add_f64 v[36:37], v[36:37], -v[28:29]
	v_add_f64 v[112:113], v[16:17], v[112:113]
	v_add_f64 v[168:169], v[34:35], -v[38:39]
	v_fma_f64 v[20:21], v[133:134], -0.5, v[20:21]
	v_add_f64 v[38:39], v[38:39], -v[34:35]
	v_add_f64 v[174:175], v[34:35], -v[26:27]
	v_add_f64 v[32:33], v[32:33], -v[24:25]
	v_add_f64 v[34:35], v[26:27], v[34:35]
	v_add_f64 v[180:181], v[24:25], -v[28:29]
	v_add_f64 v[28:29], v[28:29], -v[24:25]
	;; [unrolled: 1-line block ×3, first 2 shown]
	v_add_f64 v[147:148], v[18:19], v[147:148]
	v_add_f64 v[30:31], v[30:31], -v[26:27]
	v_add_f64 v[24:25], v[24:25], v[116:117]
	v_fma_f64 v[116:117], v[131:132], s[4:5], v[127:128]
	v_fma_f64 v[127:128], v[131:132], s[0:1], v[127:128]
	v_add_f64 v[26:27], v[26:27], v[143:144]
	v_fma_f64 v[143:144], v[60:61], s[0:1], v[135:136]
	v_fma_f64 v[172:173], v[172:173], -0.5, v[22:23]
	v_add_f64 v[186:187], v[16:17], -v[8:9]
	v_fma_f64 v[22:23], v[178:179], -0.5, v[22:23]
	v_add_f64 v[178:179], v[12:13], -v[0:1]
	v_fma_f64 v[141:142], v[141:142], -0.5, v[4:5]
	v_fma_f64 v[4:5], v[176:177], -0.5, v[4:5]
	v_add_f64 v[176:177], v[12:13], -v[16:17]
	v_add_f64 v[12:13], v[16:17], -v[12:13]
	;; [unrolled: 1-line block ×3, first 2 shown]
	v_add_f64 v[112:113], v[8:9], v[112:113]
	v_add_f64 v[8:9], v[8:9], -v[0:1]
	v_fma_f64 v[190:191], v[184:185], s[4:5], v[20:21]
	v_fma_f64 v[20:21], v[184:185], s[0:1], v[20:21]
	v_fma_f64 v[188:189], v[182:183], s[0:1], v[137:138]
	v_fma_f64 v[137:138], v[182:183], s[4:5], v[137:138]
	v_add_f64 v[147:148], v[10:11], v[147:148]
	v_add_f64 v[118:119], v[139:140], v[118:119]
	v_fma_f64 v[135:136], v[60:61], s[4:5], v[135:136]
	v_fma_f64 v[116:117], v[60:61], s[16:17], v[116:117]
	v_fma_f64 v[60:61], v[60:61], s[8:9], v[127:128]
	v_add_f64 v[62:63], v[145:146], v[62:63]
	v_fma_f64 v[127:128], v[131:132], s[16:17], v[143:144]
	v_add_f64 v[139:140], v[18:19], -v[14:15]
	v_add_f64 v[143:144], v[10:11], -v[2:3]
	v_fma_f64 v[145:146], v[186:187], s[4:5], v[172:173]
	v_add_f64 v[14:15], v[14:15], -v[18:19]
	v_add_f64 v[10:11], v[2:3], -v[10:11]
	v_fma_f64 v[18:19], v[178:179], s[0:1], v[22:23]
	v_fma_f64 v[155:156], v[155:156], -0.5, v[6:7]
	v_fma_f64 v[22:23], v[178:179], s[4:5], v[22:23]
	v_fma_f64 v[172:173], v[186:187], s[0:1], v[172:173]
	v_fma_f64 v[6:7], v[34:35], -0.5, v[6:7]
	v_add_f64 v[8:9], v[8:9], v[12:13]
	v_fma_f64 v[12:13], v[182:183], s[8:9], v[190:191]
	v_fma_f64 v[20:21], v[182:183], s[16:17], v[20:21]
	v_add_f64 v[16:17], v[16:17], v[176:177]
	v_fma_f64 v[34:35], v[184:185], s[8:9], v[188:189]
	v_fma_f64 v[137:138], v[184:185], s[16:17], v[137:138]
	v_add_f64 v[176:177], v[0:1], v[112:113]
	v_add_f64 v[147:148], v[2:3], v[147:148]
	v_fma_f64 v[2:3], v[118:119], s[6:7], v[116:117]
	v_fma_f64 v[0:1], v[131:132], s[8:9], v[135:136]
	v_fma_f64 v[118:119], v[118:119], s[6:7], v[60:61]
	v_fma_f64 v[116:117], v[62:63], s[6:7], v[127:128]
	v_fma_f64 v[60:61], v[174:175], s[0:1], v[141:142]
	v_add_f64 v[112:113], v[143:144], v[139:140]
	v_fma_f64 v[127:128], v[178:179], s[8:9], v[145:146]
	v_fma_f64 v[131:132], v[174:175], s[4:5], v[141:142]
	v_add_f64 v[10:11], v[10:11], v[14:15]
	v_fma_f64 v[14:15], v[186:187], s[8:9], v[18:19]
	v_fma_f64 v[135:136], v[149:150], s[4:5], v[4:5]
	v_fma_f64 v[4:5], v[149:150], s[0:1], v[4:5]
	v_fma_f64 v[139:140], v[32:33], s[4:5], v[155:156]
	v_fma_f64 v[141:142], v[32:33], s[0:1], v[155:156]
	v_fma_f64 v[22:23], v[186:187], s[16:17], v[22:23]
	v_fma_f64 v[143:144], v[178:179], s[16:17], v[172:173]
	v_fma_f64 v[12:13], v[8:9], s[6:7], v[12:13]
	v_fma_f64 v[8:9], v[8:9], s[6:7], v[20:21]
	v_fma_f64 v[34:35], v[16:17], s[6:7], v[34:35]
	v_fma_f64 v[16:17], v[16:17], s[6:7], v[137:138]
	v_mul_f64 v[20:21], v[161:162], s[4:5]
	v_fma_f64 v[137:138], v[36:37], s[0:1], v[6:7]
	v_fma_f64 v[6:7], v[36:37], s[4:5], v[6:7]
	v_mul_f64 v[145:146], v[157:158], s[6:7]
	v_add_f64 v[28:29], v[28:29], v[153:154]
	v_mul_f64 v[18:19], v[159:160], s[16:17]
	v_add_f64 v[151:152], v[180:181], v[151:152]
	v_fma_f64 v[60:61], v[149:150], s[8:9], v[60:61]
	v_fma_f64 v[127:128], v[112:113], s[6:7], v[127:128]
	;; [unrolled: 1-line block ×3, first 2 shown]
	v_add_f64 v[133:134], v[133:134], v[168:169]
	v_fma_f64 v[14:15], v[10:11], s[6:7], v[14:15]
	v_fma_f64 v[135:136], v[174:175], s[8:9], v[135:136]
	;; [unrolled: 1-line block ×7, first 2 shown]
	v_mul_f64 v[141:142], v[12:13], s[6:7]
	v_mul_f64 v[143:144], v[8:9], s[6:7]
	;; [unrolled: 1-line block ×5, first 2 shown]
	v_add_f64 v[30:31], v[30:31], v[38:39]
	v_fma_f64 v[38:39], v[32:33], s[16:17], v[137:138]
	v_fma_f64 v[6:7], v[32:33], s[8:9], v[6:7]
	v_mul_f64 v[32:33], v[34:35], s[16:17]
	v_mul_f64 v[12:13], v[12:13], s[4:5]
	v_fma_f64 v[20:21], v[108:109], s[6:7], v[20:21]
	v_fma_f64 v[0:1], v[62:63], s[6:7], v[0:1]
	v_mul_f64 v[34:35], v[127:128], s[6:7]
	v_fma_f64 v[137:138], v[104:105], s[4:5], -v[145:146]
	v_fma_f64 v[18:19], v[110:111], s[14:15], v[18:19]
	v_mul_f64 v[108:109], v[14:15], s[14:15]
	v_fma_f64 v[135:136], v[28:29], s[6:7], v[135:136]
	v_fma_f64 v[28:29], v[28:29], s[6:7], v[4:5]
	;; [unrolled: 1-line block ×7, first 2 shown]
	v_fma_f64 v[143:144], v[127:128], s[0:1], -v[143:144]
	v_fma_f64 v[133:134], v[10:11], s[8:9], v[112:113]
	v_fma_f64 v[149:150], v[14:15], s[8:9], -v[149:150]
	v_fma_f64 v[145:146], v[106:107], s[16:17], -v[155:156]
	v_add_f64 v[60:61], v[129:130], v[114:115]
	v_fma_f64 v[38:39], v[30:31], s[6:7], v[38:39]
	v_fma_f64 v[30:31], v[30:31], s[6:7], v[6:7]
	v_fma_f64 v[32:33], v[10:11], s[14:15], v[32:33]
	v_fma_f64 v[22:23], v[22:23], s[6:7], v[12:13]
	v_add_f64 v[104:105], v[116:117], v[20:21]
	v_add_f64 v[110:111], v[114:115], -v[129:130]
	v_fma_f64 v[34:35], v[8:9], s[4:5], -v[34:35]
	v_add_f64 v[114:115], v[116:117], -v[20:21]
	v_mul_u32_u24_e32 v20, 10, v208
	v_fma_f64 v[151:152], v[16:17], s[16:17], -v[108:109]
	v_add_f64 v[106:107], v[0:1], v[137:138]
	v_add_f64 v[116:117], v[0:1], -v[137:138]
	v_add_f64 v[127:128], v[147:148], v[26:27]
	v_add_f64 v[137:138], v[26:27], -v[147:148]
	v_lshl_add_u32 v147, v20, 3, 0
	v_mul_i32_i24_e32 v20, 10, v209
	v_add_f64 v[4:5], v[135:136], v[141:142]
	v_add_f64 v[6:7], v[28:29], v[143:144]
	;; [unrolled: 1-line block ×3, first 2 shown]
	v_add_f64 v[10:11], v[24:25], -v[176:177]
	v_add_f64 v[8:9], v[131:132], v[149:150]
	v_add_f64 v[12:13], v[153:154], -v[133:134]
	v_add_f64 v[14:15], v[135:136], -v[141:142]
	;; [unrolled: 1-line block ×5, first 2 shown]
	v_add_f64 v[0:1], v[176:177], v[24:25]
	v_add_f64 v[2:3], v[153:154], v[133:134]
	v_lshl_add_u32 v211, v20, 3, 0
	s_load_dwordx2 s[18:19], s[18:19], 0x0
	ds_write_b128 v147, v[92:95]
	ds_write_b128 v147, v[100:103] offset:16
	ds_write_b128 v147, v[84:87] offset:32
	;; [unrolled: 1-line block ×4, first 2 shown]
	ds_write_b128 v211, v[44:47]
	v_and_b32_e32 v91, 0xff, v208
	v_mul_i32_i24_e32 v20, 10, v210
	v_mad_i32_i24 v216, 0xffffffb8, v208, v147
	v_add_f64 v[108:109], v[118:119], v[145:146]
	v_add_f64 v[118:119], v[118:119], -v[145:146]
	v_mul_lo_u16 v84, 0xcd, v91
	v_lshl_add_u32 v212, v20, 3, 0
	v_add_f64 v[129:130], v[139:140], v[32:33]
	v_add_f64 v[139:140], v[139:140], -v[32:33]
	v_add_f64 v[141:142], v[38:39], -v[22:23]
	;; [unrolled: 1-line block ×4, first 2 shown]
	v_add_f64 v[131:132], v[38:39], v[22:23]
	v_add_f64 v[133:134], v[30:31], v[34:35]
	;; [unrolled: 1-line block ×3, first 2 shown]
	v_add_nc_u32_e32 v213, 0x1c00, v216
	v_add_nc_u32_e32 v214, 0x3c00, v216
	;; [unrolled: 1-line block ×3, first 2 shown]
	v_mad_i32_i24 v227, 0xffffffb8, v209, v211
	v_add_nc_u32_e32 v215, 0x4000, v216
	v_add_nc_u32_e32 v220, 0x2800, v216
	;; [unrolled: 1-line block ×3, first 2 shown]
	v_lshl_add_u32 v94, v123, 3, 0
	v_add_nc_u32_e32 v224, 0x3800, v216
	v_lshrrev_b16 v97, 11, v84
	v_and_b32_e32 v90, 0xff, v209
	v_mad_i32_i24 v228, 0xffffffb8, v210, v212
	v_add_nc_u32_e32 v221, 0x4800, v216
	v_lshl_add_u32 v217, v122, 3, 0
	v_lshl_add_u32 v95, v125, 3, 0
	v_add_nc_u32_e32 v222, 0x5400, v216
	v_lshl_add_u32 v92, v124, 3, 0
	v_lshl_add_u32 v225, v121, 3, 0
	;; [unrolled: 1-line block ×4, first 2 shown]
	v_add_nc_u32_e32 v223, 0x5000, v216
	ds_write_b128 v211, v[48:51] offset:16
	ds_write_b128 v211, v[52:55] offset:32
	;; [unrolled: 1-line block ×4, first 2 shown]
	ds_write_b128 v212, v[0:3]
	ds_write_b128 v212, v[4:7] offset:16
	ds_write_b128 v212, v[8:11] offset:32
	;; [unrolled: 1-line block ×4, first 2 shown]
	s_waitcnt lgkmcnt(0)
	s_barrier
	buffer_gl0_inv
	ds_read2_b64 v[36:39], v213 offset0:104 offset1:204
	ds_read2_b64 v[32:35], v214 offset0:80 offset1:180
	ds_read2_b64 v[28:31], v219 offset0:48 offset1:148
	ds_read2_b64 v[24:27], v215 offset0:152 offset1:252
	ds_read2_b64 v[20:23], v220 offset0:120 offset1:220
	ds_read2_b64 v[0:3], v221 offset0:96 offset1:196
	ds_read_b64 v[54:55], v227
	ds_read_b64 v[52:53], v228
	;; [unrolled: 1-line block ×4, first 2 shown]
	ds_read2_b64 v[4:7], v218 offset0:64 offset1:164
	ds_read_b64 v[46:47], v94
	ds_read_b64 v[44:45], v95
	;; [unrolled: 1-line block ×6, first 2 shown]
	ds_read2_b64 v[8:11], v223 offset0:40 offset1:140
	ds_read2_b64 v[16:19], v224 offset0:8 offset1:108
	;; [unrolled: 1-line block ×3, first 2 shown]
	s_waitcnt lgkmcnt(0)
	s_barrier
	buffer_gl0_inv
	ds_write_b128 v147, v[72:75]
	ds_write_b128 v147, v[76:79] offset:16
	ds_write_b128 v147, v[80:83] offset:32
	;; [unrolled: 1-line block ×4, first 2 shown]
	ds_write_b128 v211, v[60:63]
	v_mul_lo_u16 v60, v97, 10
	v_mul_lo_u16 v61, 0xcd, v90
	v_mov_b32_e32 v80, 5
	v_mov_b32_e32 v81, 0xcccd
	ds_write_b128 v211, v[104:107] offset:16
	v_sub_nc_u16 v100, v208, v60
	v_lshrrev_b16 v96, 11, v61
	ds_write_b128 v211, v[108:111] offset:32
	ds_write_b128 v211, v[112:115] offset:48
	;; [unrolled: 1-line block ×3, first 2 shown]
	v_mul_u32_u24_sdwa v61, v210, v81 dst_sel:DWORD dst_unused:UNUSED_PAD src0_sel:WORD_0 src1_sel:DWORD
	v_mul_u32_u24_sdwa v64, v122, v81 dst_sel:DWORD dst_unused:UNUSED_PAD src0_sel:WORD_0 src1_sel:DWORD
	v_lshlrev_b32_sdwa v68, v80, v100 dst_sel:DWORD dst_unused:UNUSED_PAD src0_sel:DWORD src1_sel:BYTE_0
	v_mul_lo_u16 v60, v96, 10
	ds_write_b128 v212, v[127:130]
	ds_write_b128 v212, v[131:134] offset:16
	ds_write_b128 v212, v[135:138] offset:32
	;; [unrolled: 1-line block ×4, first 2 shown]
	s_waitcnt lgkmcnt(0)
	v_sub_nc_u16 v98, v209, v60
	s_barrier
	v_lshrrev_b32_e32 v101, 19, v61
	buffer_gl0_inv
	global_load_dwordx4 v[60:63], v68, s[12:13]
	v_lshrrev_b32_e32 v99, 19, v64
	v_mul_u32_u24_sdwa v83, v124, v81 dst_sel:DWORD dst_unused:UNUSED_PAD src0_sel:WORD_0 src1_sel:DWORD
	v_mul_lo_u16 v69, v101, 10
	v_mul_u32_u24_sdwa v84, v126, v81 dst_sel:DWORD dst_unused:UNUSED_PAD src0_sel:WORD_0 src1_sel:DWORD
	v_lshlrev_b32_sdwa v72, v80, v98 dst_sel:DWORD dst_unused:UNUSED_PAD src0_sel:DWORD src1_sel:BYTE_0
	v_mul_lo_u16 v73, v99, 10
	v_lshrrev_b32_e32 v105, 19, v83
	v_sub_nc_u16 v103, v210, v69
	v_lshrrev_b32_e32 v104, 19, v84
	global_load_dwordx4 v[64:67], v72, s[12:13]
	v_sub_nc_u16 v102, v122, v73
	s_clause 0x1
	global_load_dwordx4 v[68:71], v68, s[12:13] offset:16
	global_load_dwordx4 v[72:75], v72, s[12:13] offset:16
	v_lshlrev_b32_sdwa v82, v80, v103 dst_sel:DWORD dst_unused:UNUSED_PAD src0_sel:DWORD src1_sel:WORD_0
	v_mul_lo_u16 v83, v105, 10
	v_lshlrev_b32_sdwa v85, v80, v102 dst_sel:DWORD dst_unused:UNUSED_PAD src0_sel:DWORD src1_sel:WORD_0
	v_mul_u32_u24_sdwa v86, v125, v81 dst_sel:DWORD dst_unused:UNUSED_PAD src0_sel:WORD_0 src1_sel:DWORD
	s_mov_b32 s20, 0xe8584caa
	s_clause 0x3
	global_load_dwordx4 v[76:79], v82, s[12:13]
	global_load_dwordx4 v[127:130], v82, s[12:13] offset:16
	global_load_dwordx4 v[116:119], v85, s[12:13]
	global_load_dwordx4 v[131:134], v85, s[12:13] offset:16
	v_mul_lo_u16 v82, v104, 10
	v_sub_nc_u16 v106, v124, v83
	v_mul_u32_u24_sdwa v83, v121, v81 dst_sel:DWORD dst_unused:UNUSED_PAD src0_sel:WORD_0 src1_sel:DWORD
	v_lshrrev_b32_e32 v113, 19, v86
	s_mov_b32 s21, 0x3febb67a
	v_sub_nc_u16 v107, v126, v82
	v_mul_u32_u24_sdwa v82, v123, v81 dst_sel:DWORD dst_unused:UNUSED_PAD src0_sel:WORD_0 src1_sel:DWORD
	v_lshrrev_b32_e32 v109, 19, v83
	v_lshlrev_b32_sdwa v84, v80, v106 dst_sel:DWORD dst_unused:UNUSED_PAD src0_sel:DWORD src1_sel:WORD_0
	v_mul_u32_u24_sdwa v81, v120, v81 dst_sel:DWORD dst_unused:UNUSED_PAD src0_sel:WORD_0 src1_sel:DWORD
	v_lshlrev_b32_sdwa v83, v80, v107 dst_sel:DWORD dst_unused:UNUSED_PAD src0_sel:DWORD src1_sel:WORD_0
	v_lshrrev_b32_e32 v108, 19, v82
	v_mul_lo_u16 v82, v109, 10
	global_load_dwordx4 v[135:138], v84, s[12:13]
	v_lshrrev_b32_e32 v110, 19, v81
	global_load_dwordx4 v[143:146], v83, s[12:13] offset:16
	v_mul_lo_u16 v85, v108, 10
	v_sub_nc_u16 v114, v121, v82
	global_load_dwordx4 v[139:142], v83, s[12:13]
	v_mul_lo_u16 v81, v110, 10
	s_mov_b32 s23, 0xbfebb67a
	v_sub_nc_u16 v112, v123, v85
	global_load_dwordx4 v[121:124], v84, s[12:13] offset:16
	v_mul_lo_u16 v84, v113, 10
	v_lshlrev_b32_sdwa v82, v80, v114 dst_sel:DWORD dst_unused:UNUSED_PAD src0_sel:DWORD src1_sel:WORD_0
	v_sub_nc_u16 v111, v120, v81
	s_mov_b32 s22, s20
	v_mul_lo_u16 v91, 0x89, v91
	v_sub_nc_u16 v115, v125, v84
	s_clause 0x1
	global_load_dwordx4 v[147:150], v82, s[12:13]
	global_load_dwordx4 v[155:158], v82, s[12:13] offset:16
	v_lshlrev_b32_sdwa v82, v80, v115 dst_sel:DWORD dst_unused:UNUSED_PAD src0_sel:DWORD src1_sel:WORD_0
	global_load_dwordx4 v[168:171], v82, s[12:13]
	v_lshlrev_b32_sdwa v83, v80, v112 dst_sel:DWORD dst_unused:UNUSED_PAD src0_sel:DWORD src1_sel:WORD_0
	v_lshlrev_b32_sdwa v80, v80, v111 dst_sel:DWORD dst_unused:UNUSED_PAD src0_sel:DWORD src1_sel:WORD_0
	s_clause 0x4
	global_load_dwordx4 v[151:154], v83, s[12:13]
	global_load_dwordx4 v[159:162], v83, s[12:13] offset:16
	global_load_dwordx4 v[172:175], v80, s[12:13]
	global_load_dwordx4 v[176:179], v82, s[12:13] offset:16
	global_load_dwordx4 v[180:183], v80, s[12:13] offset:16
	ds_read2_b64 v[80:83], v213 offset0:104 offset1:204
	ds_read2_b64 v[184:187], v214 offset0:80 offset1:180
	;; [unrolled: 1-line block ×7, first 2 shown]
	s_waitcnt vmcnt(19) lgkmcnt(6)
	v_mul_f64 v[84:85], v[80:81], v[62:63]
	v_mul_f64 v[62:63], v[36:37], v[62:63]
	s_waitcnt vmcnt(18)
	v_mul_f64 v[86:87], v[82:83], v[66:67]
	v_mul_f64 v[66:67], v[38:39], v[66:67]
	s_waitcnt vmcnt(17) lgkmcnt(5)
	v_mul_f64 v[125:126], v[184:185], v[70:71]
	v_mul_f64 v[70:71], v[32:33], v[70:71]
	s_waitcnt vmcnt(16)
	v_mul_f64 v[229:230], v[186:187], v[74:75]
	v_mul_f64 v[74:75], v[34:35], v[74:75]
	s_waitcnt vmcnt(15) lgkmcnt(4)
	v_mul_f64 v[231:232], v[188:189], v[78:79]
	v_mul_f64 v[233:234], v[28:29], v[78:79]
	s_waitcnt vmcnt(13)
	v_mul_f64 v[235:236], v[190:191], v[118:119]
	v_fma_f64 v[78:79], v[36:37], v[60:61], -v[84:85]
	s_waitcnt lgkmcnt(3)
	v_mul_f64 v[237:238], v[192:193], v[129:130]
	v_fma_f64 v[88:89], v[80:81], v[60:61], v[62:63]
	v_mul_f64 v[60:61], v[24:25], v[129:130]
	v_mul_f64 v[118:119], v[30:31], v[118:119]
	v_fma_f64 v[36:37], v[38:39], v[64:65], -v[86:87]
	v_fma_f64 v[80:81], v[82:83], v[64:65], v[66:67]
	v_fma_f64 v[84:85], v[32:33], v[68:69], -v[125:126]
	s_waitcnt vmcnt(12)
	v_mul_f64 v[125:126], v[26:27], v[133:134]
	v_fma_f64 v[86:87], v[184:185], v[68:69], v[70:71]
	s_waitcnt vmcnt(11) lgkmcnt(2)
	v_mul_f64 v[68:69], v[196:197], v[137:138]
	v_mul_f64 v[70:71], v[20:21], v[137:138]
	v_fma_f64 v[82:83], v[34:35], v[72:73], -v[229:230]
	v_fma_f64 v[32:33], v[186:187], v[72:73], v[74:75]
	v_fma_f64 v[34:35], v[28:29], v[76:77], -v[231:232]
	ds_read2_b64 v[184:187], v223 offset0:40 offset1:140
	v_fma_f64 v[62:63], v[30:31], v[116:117], -v[235:236]
	ds_read2_b64 v[28:31], v224 offset0:8 offset1:108
	s_waitcnt vmcnt(8) lgkmcnt(3)
	v_mul_f64 v[129:130], v[200:201], v[123:124]
	v_mul_f64 v[66:67], v[194:195], v[133:134]
	v_fma_f64 v[24:25], v[24:25], v[127:128], -v[237:238]
	v_fma_f64 v[74:75], v[192:193], v[127:128], v[60:61]
	v_mul_f64 v[123:124], v[0:1], v[123:124]
	v_mul_f64 v[127:128], v[202:203], v[145:146]
	;; [unrolled: 1-line block ×3, first 2 shown]
	s_waitcnt vmcnt(7) lgkmcnt(2)
	v_mul_f64 v[137:138], v[204:205], v[149:150]
	v_mul_f64 v[72:73], v[198:199], v[141:142]
	v_fma_f64 v[38:39], v[188:189], v[76:77], v[233:234]
	v_mul_f64 v[76:77], v[22:23], v[141:142]
	v_add_f64 v[145:146], v[78:79], v[84:85]
	v_fma_f64 v[60:61], v[194:195], v[131:132], v[125:126]
	v_fma_f64 v[64:65], v[190:191], v[116:117], v[118:119]
	v_fma_f64 v[68:69], v[20:21], v[135:136], -v[68:69]
	v_fma_f64 v[70:71], v[196:197], v[135:136], v[70:71]
	ds_read2_b64 v[116:119], v222 offset0:112 offset1:212
	s_waitcnt vmcnt(6) lgkmcnt(2)
	v_mul_f64 v[20:21], v[184:185], v[157:158]
	v_mov_b32_e32 v231, 3
	s_waitcnt vmcnt(5) lgkmcnt(1)
	v_mul_f64 v[141:142], v[28:29], v[170:171]
	v_add_nc_u32_e32 v229, 0x800, v216
	v_add_nc_u32_e32 v230, 0x1400, v216
	s_waitcnt vmcnt(4)
	v_mul_f64 v[125:126], v[206:207], v[153:154]
	s_waitcnt vmcnt(3)
	v_mul_f64 v[135:136], v[186:187], v[161:162]
	v_fma_f64 v[129:130], v[0:1], v[121:122], -v[129:130]
	v_mul_f64 v[0:1], v[16:17], v[170:171]
	v_fma_f64 v[66:67], v[26:27], v[131:132], -v[66:67]
	v_mul_f64 v[26:27], v[4:5], v[149:150]
	v_fma_f64 v[120:121], v[200:201], v[121:122], v[123:124]
	v_fma_f64 v[122:123], v[2:3], v[143:144], -v[127:128]
	s_waitcnt vmcnt(2)
	v_mul_f64 v[2:3], v[30:31], v[174:175]
	v_fma_f64 v[127:128], v[202:203], v[143:144], v[133:134]
	v_fma_f64 v[133:134], v[4:5], v[147:148], -v[137:138]
	v_mul_f64 v[4:5], v[18:19], v[174:175]
	v_mul_f64 v[131:132], v[6:7], v[153:154]
	v_fma_f64 v[72:73], v[22:23], v[139:140], -v[72:73]
	v_fma_f64 v[76:77], v[198:199], v[139:140], v[76:77]
	v_mul_f64 v[22:23], v[8:9], v[157:158]
	v_mul_f64 v[139:140], v[10:11], v[161:162]
	s_waitcnt vmcnt(0) lgkmcnt(0)
	v_mul_f64 v[143:144], v[118:119], v[182:183]
	v_fma_f64 v[149:150], v[8:9], v[155:156], -v[20:21]
	v_add_f64 v[8:9], v[58:59], v[78:79]
	v_fma_f64 v[141:142], v[16:17], v[168:169], -v[141:142]
	v_add_f64 v[16:17], v[88:89], -v[86:87]
	v_fma_f64 v[124:125], v[6:7], v[151:152], -v[125:126]
	v_mul_f64 v[6:7], v[116:117], v[178:179]
	v_fma_f64 v[135:136], v[10:11], v[159:160], -v[135:136]
	v_fma_f64 v[10:11], v[145:146], -0.5, v[58:59]
	v_fma_f64 v[58:59], v[28:29], v[168:169], v[0:1]
	v_add_f64 v[0:1], v[36:37], v[82:83]
	v_add_f64 v[20:21], v[34:35], v[24:25]
	v_fma_f64 v[137:138], v[204:205], v[147:148], v[26:27]
	v_mul_f64 v[26:27], v[12:13], v[178:179]
	v_fma_f64 v[145:146], v[18:19], v[172:173], -v[2:3]
	v_add_f64 v[2:3], v[62:63], v[66:67]
	v_mov_b32_e32 v126, 0xf0
	v_fma_f64 v[153:154], v[30:31], v[172:173], v[4:5]
	v_lshlrev_b32_sdwa v5, v231, v100 dst_sel:DWORD dst_unused:UNUSED_PAD src0_sel:DWORD src1_sel:BYTE_0
	v_fma_f64 v[131:132], v[206:207], v[151:152], v[131:132]
	v_mul_f64 v[147:148], v[14:15], v[182:183]
	v_mul_u32_u24_sdwa v4, v97, v126 dst_sel:DWORD dst_unused:UNUSED_PAD src0_sel:WORD_0 src1_sel:DWORD
	v_fma_f64 v[151:152], v[184:185], v[155:156], v[22:23]
	v_fma_f64 v[143:144], v[14:15], v[180:181], -v[143:144]
	v_add_f64 v[14:15], v[80:81], -v[32:33]
	v_add_f64 v[22:23], v[38:39], -v[74:75]
	v_add3_u32 v100, 0, v4, v5
	v_add_f64 v[4:5], v[8:9], v[84:85]
	v_fma_f64 v[155:156], v[12:13], v[176:177], -v[6:7]
	v_add_f64 v[12:13], v[54:55], v[36:37]
	v_fma_f64 v[6:7], v[16:17], s[20:21], v[10:11]
	v_add_f64 v[28:29], v[64:65], -v[60:61]
	v_fma_f64 v[0:1], v[0:1], -0.5, v[54:55]
	v_fma_f64 v[18:19], v[20:21], -0.5, v[52:53]
	v_add_f64 v[20:21], v[52:53], v[34:35]
	v_fma_f64 v[116:117], v[116:117], v[176:177], v[26:27]
	v_add_f64 v[26:27], v[56:57], v[62:63]
	v_fma_f64 v[2:3], v[2:3], -0.5, v[56:57]
	v_add_f64 v[30:31], v[68:69], v[129:130]
	v_fma_f64 v[139:140], v[186:187], v[159:160], v[139:140]
	v_fma_f64 v[10:11], v[16:17], s[22:23], v[10:11]
	v_lshlrev_b32_sdwa v97, v231, v103 dst_sel:DWORD dst_unused:UNUSED_PAD src0_sel:DWORD src1_sel:WORD_0
	v_fma_f64 v[118:119], v[118:119], v[180:181], v[147:148]
	ds_read_b64 v[147:148], v93
	ds_read_b64 v[93:94], v94
	;; [unrolled: 1-line block ×10, first 2 shown]
	s_waitcnt lgkmcnt(0)
	s_barrier
	buffer_gl0_inv
	v_mul_u32_u24_sdwa v92, v96, v126 dst_sel:DWORD dst_unused:UNUSED_PAD src0_sel:WORD_0 src1_sel:DWORD
	v_lshlrev_b32_sdwa v95, v231, v98 dst_sel:DWORD dst_unused:UNUSED_PAD src0_sel:DWORD src1_sel:BYTE_0
	ds_write2_b64 v100, v[4:5], v[6:7] offset1:10
	v_add_f64 v[4:5], v[12:13], v[82:83]
	v_fma_f64 v[6:7], v[14:15], s[20:21], v[0:1]
	v_fma_f64 v[0:1], v[14:15], s[22:23], v[0:1]
	v_add_f64 v[12:13], v[20:21], v[24:25]
	v_fma_f64 v[14:15], v[22:23], s[20:21], v[18:19]
	v_fma_f64 v[16:17], v[22:23], s[22:23], v[18:19]
	;; [unrolled: 3-line block ×3, first 2 shown]
	v_fma_f64 v[22:23], v[30:31], -0.5, v[50:51]
	v_add_f64 v[26:27], v[50:51], v[68:69]
	v_add_f64 v[28:29], v[70:71], -v[120:121]
	v_add_f64 v[30:31], v[72:73], v[122:123]
	v_mul_u32_u24_e32 v96, 0xf0, v101
	v_add_f64 v[50:51], v[133:134], v[149:150]
	v_mul_u32_u24_e32 v98, 0xf0, v99
	v_lshlrev_b32_sdwa v99, v231, v102 dst_sel:DWORD dst_unused:UNUSED_PAD src0_sel:DWORD src1_sel:WORD_0
	v_add3_u32 v92, 0, v92, v95
	v_add3_u32 v101, 0, v96, v97
	ds_write_b64 v100, v[10:11] offset:160
	v_add_f64 v[10:11], v[124:125], v[135:136]
	v_add3_u32 v99, 0, v98, v99
	v_add_f64 v[95:96], v[141:142], v[155:156]
	ds_write2_b64 v92, v[4:5], v[6:7] offset1:10
	ds_write_b64 v92, v[0:1] offset:160
	ds_write2_b64 v101, v[12:13], v[14:15] offset1:10
	ds_write_b64 v101, v[16:17] offset:160
	ds_write2_b64 v99, v[18:19], v[20:21] offset1:10
	v_add_f64 v[0:1], v[145:146], v[143:144]
	v_add_f64 v[14:15], v[42:43], v[72:73]
	v_add_f64 v[16:17], v[76:77], -v[127:128]
	v_add_f64 v[20:21], v[48:49], v[133:134]
	ds_write_b64 v99, v[2:3] offset:160
	v_add_f64 v[97:98], v[131:132], v[139:140]
	v_add_f64 v[2:3], v[26:27], v[129:130]
	v_fma_f64 v[4:5], v[28:29], s[20:21], v[22:23]
	v_fma_f64 v[12:13], v[30:31], -0.5, v[42:43]
	v_fma_f64 v[6:7], v[28:29], s[22:23], v[22:23]
	v_fma_f64 v[18:19], v[50:51], -0.5, v[48:49]
	v_add_f64 v[22:23], v[137:138], -v[151:152]
	v_add_f64 v[42:43], v[44:45], v[141:142]
	v_add_f64 v[26:27], v[46:47], v[124:125]
	v_add_f64 v[28:29], v[131:132], -v[139:140]
	v_mul_u32_u24_e32 v48, 0xf0, v105
	v_fma_f64 v[10:11], v[10:11], -0.5, v[46:47]
	v_add_f64 v[46:47], v[153:154], -v[118:119]
	v_fma_f64 v[30:31], v[95:96], -0.5, v[44:45]
	v_add_f64 v[44:45], v[58:59], -v[116:117]
	v_lshlrev_b32_sdwa v49, v231, v106 dst_sel:DWORD dst_unused:UNUSED_PAD src0_sel:DWORD src1_sel:WORD_0
	v_mul_u32_u24_e32 v50, 0xf0, v113
	v_fma_f64 v[0:1], v[0:1], -0.5, v[40:41]
	v_add_f64 v[40:41], v[40:41], v[145:146]
	v_lshlrev_b32_sdwa v51, v231, v115 dst_sel:DWORD dst_unused:UNUSED_PAD src0_sel:DWORD src1_sel:WORD_0
	v_add3_u32 v102, 0, v48, v49
	ds_write2_b64 v102, v[2:3], v[4:5] offset1:10
	ds_write_b64 v102, v[6:7] offset:160
	v_add_f64 v[2:3], v[14:15], v[122:123]
	v_fma_f64 v[4:5], v[16:17], s[20:21], v[12:13]
	v_fma_f64 v[6:7], v[16:17], s[22:23], v[12:13]
	v_add_f64 v[12:13], v[20:21], v[149:150]
	v_fma_f64 v[14:15], v[22:23], s[20:21], v[18:19]
	v_fma_f64 v[16:17], v[22:23], s[22:23], v[18:19]
	v_add_f64 v[22:23], v[42:43], v[155:156]
	v_add_f64 v[42:43], v[88:89], v[86:87]
	v_mul_u32_u24_e32 v48, 0xf0, v104
	v_lshlrev_b32_sdwa v49, v231, v107 dst_sel:DWORD dst_unused:UNUSED_PAD src0_sel:DWORD src1_sel:WORD_0
	v_add_f64 v[18:19], v[26:27], v[135:136]
	v_fma_f64 v[26:27], v[44:45], s[20:21], v[30:31]
	v_fma_f64 v[30:31], v[44:45], s[22:23], v[30:31]
	;; [unrolled: 1-line block ×4, first 2 shown]
	v_add_f64 v[46:47], v[80:81], v[32:33]
	v_fma_f64 v[20:21], v[28:29], s[20:21], v[10:11]
	v_add_f64 v[40:41], v[40:41], v[143:144]
	v_fma_f64 v[10:11], v[28:29], s[22:23], v[10:11]
	v_add3_u32 v103, 0, v48, v49
	v_mul_u32_u24_e32 v48, 0xf0, v109
	v_lshlrev_b32_sdwa v49, v231, v114 dst_sel:DWORD dst_unused:UNUSED_PAD src0_sel:DWORD src1_sel:WORD_0
	v_add_f64 v[28:29], v[56:57], v[88:89]
	v_add_f64 v[88:89], v[76:77], v[127:128]
	;; [unrolled: 1-line block ×3, first 2 shown]
	v_add_f64 v[62:63], v[62:63], -v[66:67]
	v_add3_u32 v109, 0, v48, v49
	v_mul_u32_u24_e32 v48, 0xf0, v108
	v_lshlrev_b32_sdwa v49, v231, v112 dst_sel:DWORD dst_unused:UNUSED_PAD src0_sel:DWORD src1_sel:WORD_0
	ds_write2_b64 v103, v[2:3], v[4:5] offset1:10
	ds_write_b64 v103, v[6:7] offset:160
	ds_write2_b64 v109, v[12:13], v[14:15] offset1:10
	v_mul_u32_u24_e32 v2, 0xf0, v110
	v_lshlrev_b32_sdwa v3, v231, v111 dst_sel:DWORD dst_unused:UNUSED_PAD src0_sel:DWORD src1_sel:WORD_0
	v_add3_u32 v112, 0, v50, v51
	v_add3_u32 v108, 0, v48, v49
	v_add_f64 v[4:5], v[78:79], -v[84:85]
	ds_write_b64 v109, v[16:17] offset:160
	ds_write2_b64 v108, v[18:19], v[20:21] offset1:10
	ds_write_b64 v108, v[10:11] offset:160
	ds_write2_b64 v112, v[22:23], v[26:27] offset1:10
	v_add3_u32 v110, 0, v2, v3
	v_fma_f64 v[2:3], v[42:43], -0.5, v[56:57]
	ds_write_b64 v112, v[30:31] offset:160
	ds_write2_b64 v110, v[40:41], v[44:45] offset1:10
	ds_write_b64 v110, v[0:1] offset:160
	v_add_f64 v[0:1], v[8:9], v[80:81]
	v_add_f64 v[6:7], v[38:39], v[74:75]
	v_fma_f64 v[12:13], v[46:47], -0.5, v[8:9]
	v_add_f64 v[14:15], v[36:37], -v[82:83]
	v_add_f64 v[48:49], v[28:29], v[86:87]
	v_add_f64 v[56:57], v[54:55], v[38:39]
	v_add_f64 v[78:79], v[34:35], -v[24:25]
	s_waitcnt lgkmcnt(0)
	s_barrier
	buffer_gl0_inv
	ds_read_b64 v[172:173], v216
	ds_read_b64 v[180:181], v217
	;; [unrolled: 1-line block ×6, first 2 shown]
	ds_read2_b64 v[104:107], v219 offset0:48 offset1:148
	ds_read2_b64 v[20:23], v220 offset0:120 offset1:220
	;; [unrolled: 1-line block ×6, first 2 shown]
	v_add_f64 v[84:85], v[64:65], v[60:61]
	v_add_f64 v[86:87], v[70:71], v[120:121]
	;; [unrolled: 1-line block ×3, first 2 shown]
	v_add_f64 v[68:69], v[68:69], -v[129:130]
	v_add_f64 v[70:71], v[147:148], v[76:77]
	v_fma_f64 v[44:45], v[4:5], s[22:23], v[2:3]
	v_fma_f64 v[46:47], v[4:5], s[20:21], v[2:3]
	v_add_f64 v[72:73], v[72:73], -v[122:123]
	v_add_f64 v[76:77], v[161:162], v[137:138]
	v_add_f64 v[50:51], v[0:1], v[32:33]
	v_fma_f64 v[54:55], v[6:7], -0.5, v[54:55]
	ds_read2_b64 v[0:3], v223 offset0:40 offset1:140
	v_fma_f64 v[80:81], v[14:15], s[22:23], v[12:13]
	v_fma_f64 v[82:83], v[14:15], s[20:21], v[12:13]
	ds_read2_b64 v[32:35], v230 offset0:60 offset1:160
	ds_read2_b64 v[24:27], v213 offset0:104 offset1:204
	ds_read2_b64 v[16:19], v218 offset0:64 offset1:164
	ds_read2_b64 v[12:15], v215 offset0:152 offset1:252
	ds_read2_b64 v[4:7], v222 offset0:112 offset1:212
	s_waitcnt lgkmcnt(0)
	s_barrier
	buffer_gl0_inv
	ds_write2_b64 v100, v[48:49], v[44:45] offset1:10
	ds_write_b64 v100, v[46:47] offset:160
	v_add_f64 v[44:45], v[58:59], v[116:117]
	v_add_f64 v[46:47], v[56:57], v[74:75]
	;; [unrolled: 1-line block ×3, first 2 shown]
	v_fma_f64 v[64:65], v[84:85], -0.5, v[159:160]
	v_fma_f64 v[48:49], v[78:79], s[22:23], v[54:55]
	v_fma_f64 v[52:53], v[86:87], -0.5, v[52:53]
	ds_write2_b64 v92, v[50:51], v[80:81] offset1:10
	v_add_f64 v[50:51], v[153:154], v[118:119]
	ds_write_b64 v92, v[82:83] offset:160
	v_fma_f64 v[74:75], v[88:89], -0.5, v[147:148]
	v_fma_f64 v[80:81], v[95:96], -0.5, v[161:162]
	v_add_f64 v[82:83], v[133:134], -v[149:150]
	v_add_f64 v[84:85], v[93:94], v[131:132]
	v_fma_f64 v[86:87], v[97:98], -0.5, v[93:94]
	v_add_f64 v[88:89], v[124:125], -v[135:136]
	v_add_f64 v[58:59], v[157:158], v[58:59]
	v_add_f64 v[92:93], v[141:142], -v[155:156]
	v_fma_f64 v[54:55], v[78:79], s[20:21], v[54:55]
	v_lshrrev_b16 v236, 12, v91
	v_fma_f64 v[44:45], v[44:45], -0.5, v[157:158]
	v_add_f64 v[56:57], v[56:57], v[60:61]
	v_fma_f64 v[60:61], v[62:63], s[22:23], v[64:65]
	ds_write2_b64 v101, v[46:47], v[48:49] offset1:10
	v_add_f64 v[46:47], v[174:175], v[153:154]
	v_fma_f64 v[62:63], v[62:63], s[20:21], v[64:65]
	v_fma_f64 v[48:49], v[50:51], -0.5, v[174:175]
	v_add_f64 v[50:51], v[145:146], -v[143:144]
	v_add_f64 v[64:65], v[66:67], v[120:121]
	v_fma_f64 v[66:67], v[68:69], s[22:23], v[52:53]
	v_fma_f64 v[52:53], v[68:69], s[20:21], v[52:53]
	v_add_f64 v[68:69], v[70:71], v[127:128]
	v_fma_f64 v[70:71], v[72:73], s[22:23], v[74:75]
	v_fma_f64 v[72:73], v[72:73], s[20:21], v[74:75]
	;; [unrolled: 3-line block ×5, first 2 shown]
	ds_write_b64 v101, v[54:55] offset:160
	ds_write2_b64 v99, v[56:57], v[60:61] offset1:10
	v_add_f64 v[46:47], v[46:47], v[118:119]
	ds_write_b64 v99, v[62:63] offset:160
	ds_write2_b64 v102, v[64:65], v[66:67] offset1:10
	ds_write_b64 v102, v[52:53] offset:160
	v_fma_f64 v[88:89], v[50:51], s[22:23], v[48:49]
	v_fma_f64 v[48:49], v[50:51], s[20:21], v[48:49]
	v_mul_lo_u16 v50, 0x89, v90
	v_mul_lo_u16 v51, v236, 30
	ds_write2_b64 v103, v[68:69], v[70:71] offset1:10
	ds_write_b64 v103, v[72:73] offset:160
	ds_write2_b64 v109, v[74:75], v[76:77] offset1:10
	ds_write_b64 v109, v[78:79] offset:160
	;; [unrolled: 2-line block ×3, first 2 shown]
	v_lshrrev_b16 v232, 12, v50
	v_sub_nc_u16 v237, v208, v51
	v_mov_b32_e32 v50, 9
	ds_write2_b64 v112, v[58:59], v[86:87] offset1:10
	ds_write_b64 v112, v[44:45] offset:160
	ds_write2_b64 v110, v[46:47], v[88:89] offset1:10
	v_mul_lo_u16 v51, v232, 30
	v_mul_u32_u24_sdwa v52, v237, v50 dst_sel:DWORD dst_unused:UNUSED_PAD src0_sel:BYTE_0 src1_sel:DWORD
	ds_write_b64 v110, v[48:49] offset:160
	s_waitcnt lgkmcnt(0)
	s_barrier
	v_sub_nc_u16 v233, v209, v51
	v_lshlrev_b32_e32 v44, 4, v52
	buffer_gl0_inv
	v_mov_b32_e32 v46, 0x8889
	v_mul_u32_u24_sdwa v45, v233, v50 dst_sel:DWORD dst_unused:UNUSED_PAD src0_sel:BYTE_0 src1_sel:DWORD
	global_load_dwordx4 v[160:163], v44, s[12:13] offset:368
	v_lshlrev_b32_sdwa v233, v231, v233 dst_sel:DWORD dst_unused:UNUSED_PAD src0_sel:DWORD src1_sel:BYTE_0
	v_mul_u32_u24_sdwa v46, v210, v46 dst_sel:DWORD dst_unused:UNUSED_PAD src0_sel:WORD_0 src1_sel:DWORD
	v_lshlrev_b32_e32 v45, 4, v45
	s_clause 0x9
	global_load_dwordx4 v[188:191], v45, s[12:13] offset:368
	global_load_dwordx4 v[238:241], v44, s[12:13] offset:400
	;; [unrolled: 1-line block ×10, first 2 shown]
	v_lshrrev_b32_e32 v234, 20, v46
	v_mul_lo_u16 v46, v234, 30
	v_sub_nc_u16 v235, v210, v46
	v_mul_u32_u24_sdwa v46, v235, v50 dst_sel:DWORD dst_unused:UNUSED_PAD src0_sel:WORD_0 src1_sel:DWORD
	v_lshlrev_b32_e32 v46, 4, v46
	s_clause 0xf
	global_load_dwordx4 v[136:139], v45, s[12:13] offset:320
	global_load_dwordx4 v[132:135], v46, s[12:13] offset:320
	;; [unrolled: 1-line block ×16, first 2 shown]
	ds_read2_b64 v[246:249], v219 offset0:48 offset1:148
	ds_read2_b64 v[152:155], v224 offset0:8 offset1:108
	;; [unrolled: 1-line block ×3, first 2 shown]
	ds_read_b64 v[202:203], v226
	ds_read2_b64 v[148:151], v220 offset0:120 offset1:220
	ds_read2_b64 v[84:87], v214 offset0:80 offset1:180
	;; [unrolled: 1-line block ×3, first 2 shown]
	ds_read_b64 v[184:185], v225
	ds_read_b64 v[186:187], v217
	s_waitcnt vmcnt(26) lgkmcnt(8)
	v_mul_f64 v[174:175], v[246:247], v[162:163]
	v_mul_f64 v[162:163], v[104:105], v[162:163]
	s_waitcnt vmcnt(25)
	v_mul_f64 v[192:193], v[248:249], v[190:191]
	v_mul_f64 v[190:191], v[106:107], v[190:191]
	s_waitcnt vmcnt(24) lgkmcnt(7)
	v_mul_f64 v[250:251], v[152:153], v[240:241]
	v_mul_f64 v[240:241], v[40:41], v[240:241]
	s_waitcnt vmcnt(23)
	v_mul_f64 v[252:253], v[22:23], v[62:63]
	s_waitcnt vmcnt(22) lgkmcnt(6)
	v_mul_f64 v[254:255], v[58:59], v[244:245]
	v_mul_f64 v[244:245], v[2:3], v[244:245]
	s_waitcnt vmcnt(21)
	v_mul_f64 v[204:205], v[10:11], v[110:111]
	s_waitcnt vmcnt(20)
	v_mul_f64 v[206:207], v[182:183], v[122:123]
	s_waitcnt lgkmcnt(5)
	v_mul_f64 v[196:197], v[202:203], v[122:123]
	s_waitcnt lgkmcnt(4)
	;; [unrolled: 2-line block ×3, first 2 shown]
	v_mul_f64 v[200:201], v[86:87], v[110:111]
	s_waitcnt vmcnt(19)
	v_mul_f64 v[194:195], v[154:155], v[102:103]
	v_fma_f64 v[176:177], v[104:105], v[160:161], -v[174:175]
	v_fma_f64 v[174:175], v[246:247], v[160:161], v[162:163]
	ds_read2_b64 v[160:163], v229 offset0:144 offset1:244
	v_fma_f64 v[106:107], v[106:107], v[188:189], -v[192:193]
	v_mul_f64 v[192:193], v[42:43], v[102:103]
	v_fma_f64 v[62:63], v[248:249], v[188:189], v[190:191]
	s_waitcnt vmcnt(17) lgkmcnt(3)
	v_mul_f64 v[188:189], v[156:157], v[90:91]
	v_mul_f64 v[190:191], v[28:29], v[90:91]
	v_fma_f64 v[90:91], v[40:41], v[238:239], -v[250:251]
	v_fma_f64 v[40:41], v[152:153], v[238:239], v[240:241]
	v_fma_f64 v[110:111], v[150:151], v[60:61], v[252:253]
	ds_read_b64 v[150:151], v216
	v_fma_f64 v[152:153], v[2:3], v[242:243], -v[254:255]
	v_fma_f64 v[2:3], v[58:59], v[242:243], v[244:245]
	s_waitcnt vmcnt(16)
	v_mul_f64 v[238:239], v[180:181], v[146:147]
	v_fma_f64 v[86:87], v[86:87], v[108:109], v[204:205]
	v_fma_f64 v[122:123], v[202:203], v[120:121], v[206:207]
	s_waitcnt lgkmcnt(2)
	v_mul_f64 v[146:147], v[186:187], v[146:147]
	v_fma_f64 v[182:183], v[182:183], v[120:121], -v[196:197]
	v_fma_f64 v[198:199], v[22:23], v[60:61], -v[198:199]
	;; [unrolled: 1-line block ×3, first 2 shown]
	ds_read2_b64 v[102:105], v230 offset0:60 offset1:160
	v_mul_f64 v[202:203], v[158:159], v[142:143]
	v_mul_f64 v[22:23], v[30:31], v[142:143]
	s_waitcnt vmcnt(15) lgkmcnt(2)
	v_mul_f64 v[60:61], v[160:161], v[138:139]
	v_mul_f64 v[138:139], v[36:37], v[138:139]
	s_waitcnt vmcnt(14)
	v_mul_f64 v[142:143], v[162:163], v[134:135]
	v_fma_f64 v[108:109], v[42:43], v[100:101], -v[194:195]
	v_fma_f64 v[58:59], v[154:155], v[100:101], v[192:193]
	s_waitcnt vmcnt(12)
	v_mul_f64 v[154:155], v[184:185], v[114:115]
	v_mul_f64 v[192:193], v[32:33], v[126:127]
	v_fma_f64 v[120:121], v[28:29], v[88:89], -v[188:189]
	v_fma_f64 v[100:101], v[156:157], v[88:89], v[190:191]
	ds_read2_b64 v[194:197], v213 offset0:104 offset1:204
	v_mul_f64 v[134:135], v[38:39], v[134:135]
	v_add_f64 v[190:191], v[176:177], v[90:91]
	v_add_f64 v[28:29], v[122:123], v[2:3]
	;; [unrolled: 1-line block ×3, first 2 shown]
	s_waitcnt lgkmcnt(1)
	v_mul_f64 v[204:205], v[102:103], v[126:127]
	s_waitcnt vmcnt(11)
	v_mul_f64 v[206:207], v[104:105], v[130:131]
	v_fma_f64 v[126:127], v[186:187], v[144:145], v[238:239]
	v_add_f64 v[186:187], v[110:111], v[86:87]
	v_fma_f64 v[144:145], v[180:181], v[144:145], -v[146:147]
	v_mul_f64 v[146:147], v[34:35], v[130:131]
	v_add_f64 v[156:157], v[198:199], v[200:201]
	v_fma_f64 v[10:11], v[30:31], v[140:141], -v[202:203]
	v_fma_f64 v[42:43], v[158:159], v[140:141], v[22:23]
	v_fma_f64 v[140:141], v[36:37], v[136:137], -v[60:61]
	v_fma_f64 v[30:31], v[160:161], v[136:137], v[138:139]
	v_fma_f64 v[130:131], v[38:39], v[132:133], -v[142:143]
	s_waitcnt vmcnt(10) lgkmcnt(0)
	v_mul_f64 v[38:39], v[194:195], v[118:119]
	v_mul_f64 v[136:137], v[24:25], v[118:119]
	v_fma_f64 v[118:119], v[178:179], v[112:113], -v[154:155]
	v_fma_f64 v[36:37], v[102:103], v[124:125], v[192:193]
	v_add_f64 v[142:143], v[110:111], -v[86:87]
	v_add_f64 v[154:155], v[198:199], -v[200:201]
	s_waitcnt vmcnt(9)
	v_mul_f64 v[138:139], v[196:197], v[98:99]
	v_fma_f64 v[22:23], v[162:163], v[132:133], v[134:135]
	v_add_f64 v[162:163], v[122:123], -v[110:111]
	v_add_f64 v[180:181], v[198:199], -v[182:183]
	v_fma_f64 v[60:61], v[32:33], v[124:125], -v[204:205]
	v_fma_f64 v[32:33], v[34:35], v[128:129], -v[206:207]
	v_mul_f64 v[34:35], v[178:179], v[114:115]
	v_fma_f64 v[114:115], v[186:187], -0.5, v[126:127]
	v_add_f64 v[124:125], v[182:183], -v[152:153]
	v_fma_f64 v[158:159], v[28:29], -0.5, v[126:127]
	v_fma_f64 v[160:161], v[88:89], -0.5, v[144:145]
	v_fma_f64 v[28:29], v[104:105], v[128:129], v[146:147]
	v_add_f64 v[104:105], v[122:123], -v[2:3]
	v_fma_f64 v[128:129], v[156:157], -0.5, v[144:145]
	v_mul_f64 v[146:147], v[26:27], v[98:99]
	s_waitcnt vmcnt(8)
	v_mul_f64 v[156:157], v[148:149], v[94:95]
	v_mul_f64 v[94:95], v[20:21], v[94:95]
	v_add_f64 v[178:179], v[2:3], -v[86:87]
	v_add_f64 v[186:187], v[200:201], -v[152:153]
	v_fma_f64 v[188:189], v[24:25], v[116:117], -v[38:39]
	v_add_f64 v[38:39], v[118:119], v[120:121]
	v_fma_f64 v[88:89], v[194:195], v[116:117], v[136:137]
	v_add_f64 v[136:137], v[110:111], -v[122:123]
	v_add_f64 v[202:203], v[152:153], -v[200:201]
	v_fma_f64 v[102:103], v[26:27], v[96:97], -v[138:139]
	ds_read2_b64 v[132:135], v218 offset0:64 offset1:164
	v_add_f64 v[122:123], v[126:127], v[122:123]
	v_fma_f64 v[98:99], v[184:185], v[112:113], v[34:35]
	v_add_f64 v[184:185], v[86:87], -v[2:3]
	v_fma_f64 v[116:117], v[124:125], s[4:5], v[114:115]
	v_fma_f64 v[192:193], v[154:155], s[0:1], v[158:159]
	;; [unrolled: 1-line block ×3, first 2 shown]
	v_add_f64 v[112:113], v[182:183], -v[198:199]
	v_fma_f64 v[158:159], v[154:155], s[4:5], v[158:159]
	v_fma_f64 v[26:27], v[104:105], s[4:5], v[128:129]
	;; [unrolled: 1-line block ×3, first 2 shown]
	v_fma_f64 v[20:21], v[20:21], v[92:93], -v[156:157]
	v_fma_f64 v[34:35], v[148:149], v[92:93], v[94:95]
	v_add_f64 v[92:93], v[144:145], v[182:183]
	v_fma_f64 v[96:97], v[142:143], s[4:5], v[160:161]
	v_add_f64 v[144:145], v[162:163], v[178:179]
	v_add_f64 v[146:147], v[180:181], v[186:187]
	v_add_f64 v[148:149], v[174:175], -v[40:41]
	v_fma_f64 v[38:39], v[38:39], -0.5, v[172:173]
	v_fma_f64 v[156:157], v[190:191], -0.5, v[172:173]
	v_add_f64 v[160:161], v[172:173], v[118:119]
	v_fma_f64 v[128:129], v[104:105], s[0:1], v[128:129]
	s_waitcnt vmcnt(7) lgkmcnt(0)
	v_mul_f64 v[94:95], v[132:133], v[82:83]
	v_mul_f64 v[186:187], v[16:17], v[82:83]
	v_add_f64 v[162:163], v[98:99], -v[100:101]
	v_add_f64 v[172:173], v[136:137], v[184:185]
	v_fma_f64 v[116:117], v[154:155], s[16:17], v[116:117]
	v_fma_f64 v[178:179], v[124:125], s[16:17], v[192:193]
	;; [unrolled: 1-line block ×3, first 2 shown]
	v_add_f64 v[182:183], v[112:113], v[202:203]
	v_fma_f64 v[184:185], v[124:125], s[0:1], v[114:115]
	v_fma_f64 v[26:27], v[142:143], s[16:17], v[26:27]
	v_add_f64 v[192:193], v[118:119], -v[176:177]
	v_add_f64 v[194:195], v[120:121], -v[90:91]
	;; [unrolled: 1-line block ×3, first 2 shown]
	v_add_f64 v[196:197], v[92:93], v[198:199]
	v_add_f64 v[198:199], v[176:177], -v[118:119]
	v_fma_f64 v[104:105], v[104:105], s[8:9], v[96:97]
	v_fma_f64 v[124:125], v[124:125], s[8:9], v[158:159]
	ds_read2_b64 v[112:115], v215 offset0:152 offset1:252
	ds_read2_b64 v[136:139], v222 offset0:112 offset1:212
	v_fma_f64 v[204:205], v[148:149], s[4:5], v[38:39]
	s_waitcnt vmcnt(6)
	v_mul_f64 v[190:191], v[134:135], v[66:67]
	v_add_f64 v[160:161], v[160:161], v[176:177]
	v_fma_f64 v[128:129], v[142:143], s[8:9], v[128:129]
	v_add_f64 v[110:111], v[122:123], v[110:111]
	v_add_f64 v[122:123], v[98:99], -v[174:175]
	v_fma_f64 v[206:207], v[162:163], s[0:1], v[156:157]
	v_fma_f64 v[142:143], v[162:163], s[4:5], v[156:157]
	;; [unrolled: 1-line block ×8, first 2 shown]
	v_fma_f64 v[156:157], v[16:17], v[80:81], -v[94:95]
	v_fma_f64 v[80:81], v[132:133], v[80:81], v[186:187]
	v_mul_f64 v[132:133], v[18:19], v[66:67]
	s_waitcnt vmcnt(5)
	v_mul_f64 v[66:67], v[12:13], v[78:79]
	s_waitcnt lgkmcnt(1)
	v_mul_f64 v[158:159], v[112:113], v[78:79]
	s_waitcnt vmcnt(4) lgkmcnt(0)
	v_mul_f64 v[178:179], v[136:137], v[50:51]
	v_add_f64 v[180:181], v[192:193], v[194:195]
	v_add_f64 v[184:185], v[196:197], v[200:201]
	;; [unrolled: 1-line block ×3, first 2 shown]
	v_fma_f64 v[26:27], v[146:147], s[6:7], v[104:105]
	v_fma_f64 v[104:105], v[162:163], s[8:9], v[204:205]
	v_add_f64 v[146:147], v[160:161], v[90:91]
	v_fma_f64 v[16:17], v[182:183], s[6:7], v[128:129]
	v_fma_f64 v[94:95], v[172:173], s[6:7], v[124:125]
	;; [unrolled: 1-line block ×4, first 2 shown]
	v_mul_f64 v[128:129], v[96:97], s[8:9]
	v_fma_f64 v[116:117], v[162:163], s[16:17], v[116:117]
	v_mul_f64 v[124:125], v[92:93], s[0:1]
	v_mul_f64 v[162:163], v[82:83], s[6:7]
	v_fma_f64 v[78:79], v[144:145], s[6:7], v[154:155]
	v_mul_f64 v[144:145], v[38:39], s[14:15]
	v_fma_f64 v[18:19], v[18:19], v[64:65], -v[190:191]
	s_waitcnt vmcnt(3)
	v_mul_f64 v[148:149], v[84:85], v[74:75]
	v_mul_f64 v[154:155], v[8:9], v[74:75]
	s_waitcnt vmcnt(2)
	v_mul_f64 v[172:173], v[114:115], v[70:71]
	v_mul_f64 v[182:183], v[14:15], v[70:71]
	v_fma_f64 v[66:67], v[112:113], v[76:77], v[66:67]
	s_waitcnt vmcnt(1)
	v_mul_f64 v[112:113], v[56:57], v[54:55]
	v_mul_f64 v[54:55], v[0:1], v[54:55]
	;; [unrolled: 1-line block ×3, first 2 shown]
	s_waitcnt vmcnt(0)
	v_mul_f64 v[190:191], v[138:139], v[46:47]
	v_fma_f64 v[178:179], v[4:5], v[48:49], -v[178:179]
	v_add_f64 v[152:153], v[184:185], v[152:153]
	v_add_f64 v[146:147], v[146:147], v[120:121]
	v_fma_f64 v[104:105], v[186:187], s[6:7], v[104:105]
	v_fma_f64 v[160:161], v[180:181], s[6:7], v[160:161]
	v_fma_f64 v[158:159], v[12:13], v[76:77], -v[158:159]
	v_fma_f64 v[128:129], v[16:17], s[14:15], v[128:129]
	v_fma_f64 v[116:117], v[186:187], s[6:7], v[116:117]
	;; [unrolled: 1-line block ×3, first 2 shown]
	v_fma_f64 v[162:163], v[94:95], s[0:1], -v[162:163]
	v_fma_f64 v[142:143], v[180:181], s[6:7], v[142:143]
	v_fma_f64 v[144:145], v[78:79], s[8:9], -v[144:145]
	v_mul_f64 v[76:77], v[6:7], v[46:47]
	v_fma_f64 v[70:71], v[134:135], v[64:65], v[132:133]
	v_fma_f64 v[74:75], v[8:9], v[72:73], -v[148:149]
	v_fma_f64 v[46:47], v[84:85], v[72:73], v[154:155]
	v_fma_f64 v[4:5], v[14:15], v[68:69], -v[172:173]
	v_fma_f64 v[64:65], v[114:115], v[68:69], v[182:183]
	v_add_f64 v[8:9], v[80:81], v[66:67]
	v_fma_f64 v[12:13], v[0:1], v[52:53], -v[112:113]
	v_fma_f64 v[72:73], v[136:137], v[48:49], v[50:51]
	v_fma_f64 v[68:69], v[56:57], v[52:53], v[54:55]
	v_add_f64 v[48:49], v[188:189], v[178:179]
	v_fma_f64 v[0:1], v[6:7], v[44:45], -v[190:191]
	v_add_f64 v[6:7], v[146:147], v[152:153]
	v_add_f64 v[132:133], v[140:141], v[188:189]
	v_add_f64 v[112:113], v[146:147], -v[152:153]
	v_add_f64 v[56:57], v[156:157], v[158:159]
	v_add_f64 v[50:51], v[160:161], v[128:129]
	v_mov_b32_e32 v184, 0x960
	v_add_f64 v[52:53], v[104:105], v[124:125]
	v_add_f64 v[54:55], v[116:117], v[162:163]
	v_lshlrev_b32_sdwa v15, v231, v237 dst_sel:DWORD dst_unused:UNUSED_PAD src0_sel:DWORD src1_sel:BYTE_0
	v_add_f64 v[114:115], v[142:143], v[144:145]
	v_mul_u32_u24_sdwa v14, v236, v184 dst_sel:DWORD dst_unused:UNUSED_PAD src0_sel:WORD_0 src1_sel:DWORD
	v_fma_f64 v[44:45], v[138:139], v[44:45], v[76:77]
	v_add_f64 v[134:135], v[188:189], -v[178:179]
	v_add_f64 v[136:137], v[80:81], -v[66:67]
	v_add_f64 v[146:147], v[60:61], v[10:11]
	v_add3_u32 v84, 0, v14, v15
	ds_read_b64 v[14:15], v227
	ds_read_b64 v[76:77], v228
	v_fma_f64 v[8:9], v[8:9], -0.5, v[30:31]
	s_waitcnt lgkmcnt(0)
	v_add_f64 v[138:139], v[88:89], v[72:73]
	v_fma_f64 v[48:49], v[48:49], -0.5, v[140:141]
	s_barrier
	buffer_gl0_inv
	v_add_f64 v[104:105], v[104:105], -v[124:125]
	v_add_f64 v[124:125], v[88:89], -v[72:73]
	v_fma_f64 v[56:57], v[56:57], -0.5, v[140:141]
	ds_write2_b64 v84, v[6:7], v[50:51] offset1:30
	v_add_f64 v[6:7], v[160:161], -v[128:129]
	v_add_f64 v[50:51], v[106:107], v[108:109]
	ds_write2_b64 v84, v[52:53], v[54:55] offset0:60 offset1:90
	ds_write2_b64 v84, v[114:115], v[112:113] offset0:120 offset1:150
	v_add_f64 v[52:53], v[88:89], -v[80:81]
	v_add_f64 v[54:55], v[72:73], -v[66:67]
	v_add_f64 v[112:113], v[132:133], v[156:157]
	v_add_f64 v[114:115], v[156:157], -v[188:189]
	v_add_f64 v[128:129], v[158:159], -v[178:179]
	;; [unrolled: 1-line block ×5, first 2 shown]
	v_fma_f64 v[140:141], v[134:135], s[4:5], v[8:9]
	v_fma_f64 v[146:147], v[146:147], -0.5, v[170:171]
	v_fma_f64 v[138:139], v[138:139], -0.5, v[30:31]
	v_fma_f64 v[144:145], v[136:137], s[4:5], v[48:49]
	v_fma_f64 v[48:49], v[136:137], s[0:1], v[48:49]
	v_add_f64 v[148:149], v[62:63], -v[58:59]
	v_add_f64 v[152:153], v[188:189], -v[156:157]
	;; [unrolled: 1-line block ×3, first 2 shown]
	v_add_f64 v[156:157], v[170:171], v[60:61]
	v_add_f64 v[160:161], v[36:37], -v[42:43]
	v_fma_f64 v[162:163], v[124:125], s[0:1], v[56:57]
	v_fma_f64 v[50:51], v[50:51], -0.5, v[170:171]
	v_add_f64 v[170:171], v[60:61], -v[106:107]
	v_add_f64 v[172:173], v[10:11], -v[108:109]
	ds_write2_b64 v84, v[6:7], v[104:105] offset0:180 offset1:210
	v_add_f64 v[6:7], v[52:53], v[54:55]
	v_add_f64 v[52:53], v[112:113], v[158:159]
	v_add_f64 v[54:55], v[106:107], -v[60:61]
	v_add_f64 v[104:105], v[108:109], -v[10:11]
	v_add_f64 v[112:113], v[114:115], v[128:129]
	v_add_f64 v[128:129], v[80:81], -v[88:89]
	v_fma_f64 v[56:57], v[124:125], s[4:5], v[56:57]
	v_fma_f64 v[114:115], v[132:133], s[16:17], v[140:141]
	v_add_f64 v[140:141], v[66:67], -v[72:73]
	v_fma_f64 v[158:159], v[132:133], s[0:1], v[138:139]
	v_fma_f64 v[144:145], v[124:125], s[8:9], v[144:145]
	;; [unrolled: 1-line block ×6, first 2 shown]
	v_add_f64 v[152:153], v[152:153], v[154:155]
	v_add_f64 v[124:125], v[156:157], v[106:107]
	v_fma_f64 v[156:157], v[136:137], s[8:9], v[162:163]
	v_fma_f64 v[154:155], v[160:161], s[0:1], v[50:51]
	v_add_f64 v[162:163], v[70:71], v[64:65]
	v_add_f64 v[170:171], v[170:171], v[172:173]
	;; [unrolled: 1-line block ×7, first 2 shown]
	v_fma_f64 v[8:9], v[134:135], s[0:1], v[8:9]
	v_fma_f64 v[50:51], v[160:161], s[4:5], v[50:51]
	;; [unrolled: 1-line block ×4, first 2 shown]
	v_add_f64 v[114:115], v[128:129], v[140:141]
	v_fma_f64 v[128:129], v[134:135], s[16:17], v[158:159]
	v_fma_f64 v[140:141], v[112:113], s[6:7], v[144:145]
	;; [unrolled: 1-line block ×6, first 2 shown]
	v_add_f64 v[146:147], v[102:103], -v[0:1]
	v_add_f64 v[160:161], v[70:71], -v[64:65]
	v_fma_f64 v[144:145], v[152:153], s[6:7], v[156:157]
	v_fma_f64 v[136:137], v[148:149], s[8:9], v[154:155]
	v_fma_f64 v[154:155], v[162:163], -0.5, v[22:23]
	v_add_f64 v[156:157], v[18:19], -v[4:5]
	v_fma_f64 v[158:159], v[172:173], -0.5, v[22:23]
	v_fma_f64 v[172:173], v[182:183], -0.5, v[130:131]
	v_mul_u32_u24_sdwa v232, v232, v184 dst_sel:DWORD dst_unused:UNUSED_PAD src0_sel:WORD_0 src1_sel:DWORD
	v_fma_f64 v[162:163], v[178:179], -0.5, v[130:131]
	v_add_f64 v[178:179], v[24:25], -v[44:45]
	v_fma_f64 v[8:9], v[132:133], s[8:9], v[8:9]
	v_add_f64 v[132:133], v[102:103], -v[18:19]
	v_add_f64 v[182:183], v[0:1], -v[4:5]
	;; [unrolled: 1-line block ×4, first 2 shown]
	v_add_f64 v[188:189], v[32:33], v[12:13]
	v_fma_f64 v[152:153], v[152:153], s[6:7], v[56:57]
	v_add_f64 v[56:57], v[20:21], v[74:75]
	v_add_f64 v[190:191], v[24:25], -v[70:71]
	v_add_f64 v[192:193], v[44:45], -v[64:65]
	;; [unrolled: 1-line block ×4, first 2 shown]
	v_fma_f64 v[50:51], v[148:149], s[16:17], v[50:51]
	v_add_f64 v[102:103], v[130:131], v[102:103]
	v_add_f64 v[124:125], v[124:125], v[108:109]
	v_fma_f64 v[194:195], v[146:147], s[4:5], v[154:155]
	v_mul_f64 v[180:181], v[104:105], s[8:9]
	v_fma_f64 v[198:199], v[156:157], s[0:1], v[158:159]
	v_fma_f64 v[158:159], v[156:157], s[4:5], v[158:159]
	;; [unrolled: 1-line block ×7, first 2 shown]
	v_add_f64 v[130:131], v[132:133], v[182:183]
	v_fma_f64 v[132:133], v[160:161], s[4:5], v[162:163]
	v_add_f64 v[148:149], v[184:185], v[186:187]
	v_fma_f64 v[162:163], v[188:189], -0.5, v[168:169]
	v_add_f64 v[182:183], v[34:35], -v[46:47]
	v_fma_f64 v[56:57], v[56:57], -0.5, v[168:169]
	v_add_f64 v[184:185], v[28:29], -v[68:69]
	v_add_f64 v[186:187], v[190:191], v[192:193]
	v_add_f64 v[168:169], v[168:169], v[32:33]
	;; [unrolled: 1-line block ×3, first 2 shown]
	v_fma_f64 v[136:137], v[170:171], s[6:7], v[136:137]
	v_add_f64 v[18:19], v[102:103], v[18:19]
	v_add_f64 v[102:103], v[20:21], -v[32:33]
	v_fma_f64 v[188:189], v[156:157], s[16:17], v[194:195]
	v_add_f64 v[124:125], v[124:125], v[10:11]
	v_fma_f64 v[190:191], v[146:147], s[16:17], v[198:199]
	v_fma_f64 v[146:147], v[146:147], s[8:9], v[158:159]
	;; [unrolled: 1-line block ×5, first 2 shown]
	v_add_f64 v[204:205], v[74:75], -v[12:13]
	v_fma_f64 v[160:161], v[160:161], s[8:9], v[172:173]
	v_fma_f64 v[114:115], v[114:115], s[6:7], v[48:49]
	;; [unrolled: 1-line block ×3, first 2 shown]
	v_mul_f64 v[48:49], v[128:129], s[0:1]
	v_mul_f64 v[198:199], v[112:113], s[6:7]
	v_fma_f64 v[206:207], v[182:183], s[4:5], v[162:163]
	v_fma_f64 v[162:163], v[182:183], s[0:1], v[162:163]
	;; [unrolled: 1-line block ×6, first 2 shown]
	v_add_f64 v[134:135], v[32:33], -v[20:21]
	v_add_f64 v[202:203], v[12:13], -v[74:75]
	v_add_f64 v[168:169], v[168:169], v[20:21]
	v_fma_f64 v[172:173], v[186:187], s[6:7], v[188:189]
	v_fma_f64 v[154:155], v[156:157], s[8:9], v[154:155]
	;; [unrolled: 1-line block ×3, first 2 shown]
	v_mul_f64 v[6:7], v[152:153], s[14:15]
	v_add_nc_u32_e32 v85, 0x400, v84
	v_fma_f64 v[188:189], v[192:193], s[6:7], v[194:195]
	v_fma_f64 v[156:157], v[130:131], s[6:7], v[196:197]
	v_add_f64 v[196:197], v[174:175], v[40:41]
	v_add_f64 v[4:5], v[18:19], v[4:5]
	;; [unrolled: 1-line block ×3, first 2 shown]
	v_fma_f64 v[132:133], v[192:193], s[6:7], v[132:133]
	v_fma_f64 v[146:147], v[148:149], s[6:7], v[146:147]
	;; [unrolled: 1-line block ×7, first 2 shown]
	v_add_f64 v[138:139], v[124:125], v[52:53]
	v_add_f64 v[190:191], v[136:137], v[180:181]
	v_fma_f64 v[48:49], v[140:141], s[6:7], v[48:49]
	v_fma_f64 v[194:195], v[114:115], s[0:1], -v[198:199]
	v_add_f64 v[134:135], v[134:135], v[202:203]
	v_add_f64 v[168:169], v[168:169], v[74:75]
	v_fma_f64 v[130:131], v[130:131], s[6:7], v[160:161]
	v_mul_f64 v[148:149], v[158:159], s[0:1]
	v_mul_f64 v[160:161], v[172:173], s[8:9]
	ds_write2_b64 v85, v[116:117], v[142:143] offset0:112 offset1:142
	v_mul_f64 v[182:183], v[188:189], s[6:7]
	v_add_f64 v[116:117], v[118:119], -v[120:121]
	v_add_f64 v[118:119], v[150:151], v[98:99]
	v_fma_f64 v[120:121], v[196:197], -0.5, v[150:151]
	v_add_f64 v[142:143], v[98:99], v[100:101]
	v_fma_f64 v[50:51], v[170:171], s[6:7], v[50:51]
	v_fma_f64 v[6:7], v[200:201], s[8:9], -v[6:7]
	v_fma_f64 v[154:155], v[186:187], s[6:7], v[154:155]
	v_mul_f64 v[184:185], v[156:157], s[14:15]
	v_add3_u32 v186, 0, v232, v233
	v_fma_f64 v[102:103], v[18:19], s[6:7], v[102:103]
	v_fma_f64 v[18:19], v[18:19], s[6:7], v[162:163]
	v_add_f64 v[0:1], v[4:5], v[0:1]
	v_add_f64 v[170:171], v[100:101], -v[40:41]
	ds_write2_b64 v186, v[138:139], v[190:191] offset1:30
	v_add_f64 v[126:127], v[8:9], v[48:49]
	v_add_f64 v[138:139], v[54:55], v[194:195]
	;; [unrolled: 1-line block ×3, first 2 shown]
	v_fma_f64 v[168:169], v[134:135], s[6:7], v[178:179]
	v_fma_f64 v[148:149], v[132:133], s[6:7], v[148:149]
	;; [unrolled: 1-line block ×3, first 2 shown]
	v_add_f64 v[52:53], v[124:125], -v[52:53]
	v_fma_f64 v[162:163], v[146:147], s[0:1], -v[182:183]
	v_add_f64 v[90:91], v[176:177], -v[90:91]
	v_add_f64 v[118:119], v[118:119], v[174:175]
	v_fma_f64 v[124:125], v[116:117], s[4:5], v[120:121]
	v_add_f64 v[8:9], v[8:9], -v[48:49]
	v_add_f64 v[48:49], v[54:55], -v[194:195]
	v_fma_f64 v[54:55], v[142:143], -0.5, v[150:151]
	v_add_f64 v[176:177], v[50:51], v[6:7]
	v_fma_f64 v[56:57], v[134:135], s[6:7], v[56:57]
	v_fma_f64 v[134:135], v[154:155], s[8:9], -v[184:185]
	v_add_f64 v[136:137], v[136:137], -v[180:181]
	v_add_f64 v[6:7], v[50:51], -v[6:7]
	v_add_f64 v[86:87], v[110:111], v[86:87]
	v_add_f64 v[110:111], v[122:123], v[170:171]
	v_add_f64 v[98:99], v[174:175], -v[98:99]
	v_add_f64 v[106:107], v[106:107], -v[108:109]
	v_add_f64 v[108:109], v[28:29], v[68:69]
	v_add_f64 v[50:51], v[4:5], v[0:1]
	v_add_f64 v[0:1], v[4:5], -v[0:1]
	v_add_f64 v[150:151], v[102:103], v[148:149]
	v_add_f64 v[102:103], v[102:103], -v[148:149]
	v_add_f64 v[4:5], v[168:169], v[160:161]
	v_add_f64 v[148:149], v[18:19], v[162:163]
	v_add_f64 v[18:19], v[18:19], -v[162:163]
	v_add_nc_u32_e32 v162, 0x400, v186
	v_add_f64 v[118:119], v[118:119], v[40:41]
	v_fma_f64 v[122:123], v[90:91], s[16:17], v[124:125]
	v_add_f64 v[40:41], v[40:41], -v[100:101]
	v_fma_f64 v[124:125], v[90:91], s[0:1], v[54:55]
	v_fma_f64 v[54:55], v[90:91], s[4:5], v[54:55]
	ds_write2_b64 v186, v[126:127], v[138:139] offset0:60 offset1:90
	ds_write2_b64 v186, v[176:177], v[52:53] offset0:120 offset1:150
	;; [unrolled: 1-line block ×4, first 2 shown]
	v_add_f64 v[6:7], v[62:63], v[58:59]
	v_add_f64 v[142:143], v[168:169], -v[160:161]
	v_add_f64 v[160:161], v[56:57], v[134:135]
	v_add_f64 v[56:57], v[56:57], -v[134:135]
	v_lshlrev_b32_sdwa v134, v231, v235 dst_sel:DWORD dst_unused:UNUSED_PAD src0_sel:DWORD src1_sel:WORD_0
	v_mul_u32_u24_e32 v135, 0x960, v234
	v_mul_f64 v[94:95], v[94:95], s[6:7]
	v_add_f64 v[30:31], v[30:31], v[88:89]
	v_add_f64 v[32:33], v[32:33], -v[12:13]
	v_add_f64 v[138:139], v[22:23], v[24:25]
	v_add3_u32 v163, 0, v135, v134
	v_add_f64 v[134:135], v[34:35], v[46:47]
	v_add_f64 v[74:75], v[20:21], -v[74:75]
	v_mul_f64 v[16:17], v[16:17], s[16:17]
	v_mul_f64 v[136:137], v[26:27], s[4:5]
	v_add_nc_u32_e32 v48, 0x400, v163
	ds_write2_b64 v163, v[50:51], v[4:5] offset1:30
	ds_write2_b64 v163, v[150:151], v[148:149] offset0:60 offset1:90
	ds_write2_b64 v163, v[160:161], v[0:1] offset0:120 offset1:150
	;; [unrolled: 1-line block ×4, first 2 shown]
	v_add_f64 v[100:101], v[118:119], v[100:101]
	v_fma_f64 v[102:103], v[110:111], s[6:7], v[122:123]
	v_add_f64 v[40:41], v[98:99], v[40:41]
	v_add_f64 v[98:99], v[36:37], v[42:43]
	v_fma_f64 v[118:119], v[116:117], s[16:17], v[124:125]
	v_fma_f64 v[122:123], v[116:117], s[8:9], v[54:55]
	;; [unrolled: 1-line block ×3, first 2 shown]
	v_add_f64 v[120:121], v[14:15], v[36:37]
	v_add_f64 v[124:125], v[60:61], -v[10:11]
	v_fma_f64 v[126:127], v[6:7], -0.5, v[14:15]
	v_add_f64 v[142:143], v[58:59], -v[42:43]
	v_fma_f64 v[82:83], v[82:83], s[4:5], -v[94:95]
	v_add_f64 v[80:81], v[30:31], v[80:81]
	v_add_f64 v[70:71], v[138:139], v[70:71]
	;; [unrolled: 1-line block ×3, first 2 shown]
	v_fma_f64 v[96:97], v[96:97], s[14:15], v[16:17]
	v_fma_f64 v[92:93], v[92:93], s[6:7], v[136:137]
	v_mul_f64 v[78:79], v[78:79], s[14:15]
	v_mul_f64 v[136:137], v[144:145], s[16:17]
	;; [unrolled: 1-line block ×5, first 2 shown]
	s_waitcnt lgkmcnt(0)
	s_barrier
	buffer_gl0_inv
	v_fma_f64 v[98:99], v[98:99], -0.5, v[14:15]
	v_fma_f64 v[118:119], v[40:41], s[6:7], v[118:119]
	v_fma_f64 v[40:41], v[40:41], s[6:7], v[122:123]
	;; [unrolled: 1-line block ×3, first 2 shown]
	v_add_f64 v[90:91], v[36:37], -v[62:63]
	v_add_f64 v[116:117], v[42:43], -v[58:59]
	v_add_f64 v[120:121], v[120:121], v[62:63]
	v_add_f64 v[36:37], v[62:63], -v[36:37]
	v_fma_f64 v[62:63], v[124:125], s[4:5], v[126:127]
	v_fma_f64 v[122:123], v[124:125], s[0:1], v[126:127]
	v_fma_f64 v[126:127], v[134:135], -0.5, v[76:77]
	v_add_f64 v[134:135], v[76:77], v[28:29]
	v_fma_f64 v[76:77], v[108:109], -0.5, v[76:77]
	v_add_f64 v[108:109], v[28:29], -v[34:35]
	v_add_f64 v[66:67], v[80:81], v[66:67]
	v_add_f64 v[64:65], v[70:71], v[64:65]
	v_mul_f64 v[70:71], v[130:131], s[16:17]
	v_add_f64 v[80:81], v[102:103], v[96:97]
	v_fma_f64 v[38:39], v[38:39], s[16:17], -v[78:79]
	v_add_f64 v[96:97], v[102:103], -v[96:97]
	ds_read_b64 v[148:149], v227
	ds_read_b64 v[49:50], v228
	;; [unrolled: 1-line block ×6, first 2 shown]
	ds_read2_b64 v[0:3], v219 offset0:48 offset1:148
	ds_read2_b64 v[8:11], v220 offset0:120 offset1:220
	;; [unrolled: 1-line block ×3, first 2 shown]
	v_fma_f64 v[94:95], v[106:107], s[0:1], v[98:99]
	v_fma_f64 v[98:99], v[106:107], s[4:5], v[98:99]
	ds_read2_b64 v[16:19], v214 offset0:80 offset1:180
	v_fma_f64 v[88:89], v[110:111], s[6:7], v[88:89]
	v_add_f64 v[110:111], v[68:69], -v[46:47]
	v_add_f64 v[90:91], v[90:91], v[116:117]
	v_add_f64 v[58:59], v[120:121], v[58:59]
	v_add_f64 v[36:37], v[36:37], v[142:143]
	v_fma_f64 v[62:63], v[106:107], s[16:17], v[62:63]
	v_fma_f64 v[106:107], v[106:107], s[8:9], v[122:123]
	;; [unrolled: 1-line block ×3, first 2 shown]
	v_add_f64 v[120:121], v[134:135], v[34:35]
	v_add_f64 v[34:35], v[34:35], -v[28:29]
	v_fma_f64 v[122:123], v[32:33], s[0:1], v[126:127]
	v_add_f64 v[126:127], v[46:47], -v[68:69]
	v_fma_f64 v[134:135], v[74:75], s[0:1], v[76:77]
	v_fma_f64 v[76:77], v[74:75], s[4:5], v[76:77]
	v_add_f64 v[44:45], v[64:65], v[44:45]
	v_fma_f64 v[70:71], v[172:173], s[14:15], v[70:71]
	ds_read2_b64 v[12:15], v221 offset0:96 offset1:196
	ds_read2_b64 v[20:23], v223 offset0:40 offset1:140
	;; [unrolled: 1-line block ×3, first 2 shown]
	v_fma_f64 v[94:95], v[124:125], s[16:17], v[94:95]
	v_fma_f64 v[98:99], v[124:125], s[8:9], v[98:99]
	v_add_f64 v[124:125], v[100:101], v[86:87]
	v_add_f64 v[86:87], v[100:101], -v[86:87]
	v_add_f64 v[108:109], v[108:109], v[110:111]
	v_fma_f64 v[100:101], v[152:153], s[16:17], -v[140:141]
	v_add_f64 v[42:43], v[58:59], v[42:43]
	ds_read2_b64 v[28:31], v230 offset0:60 offset1:160
	v_fma_f64 v[58:59], v[90:91], s[6:7], v[62:63]
	v_add_f64 v[62:63], v[66:67], v[72:73]
	v_fma_f64 v[116:117], v[74:75], s[16:17], v[116:117]
	v_add_f64 v[46:47], v[120:121], v[46:47]
	v_fma_f64 v[66:67], v[90:91], s[6:7], v[106:107]
	v_fma_f64 v[74:75], v[74:75], s[8:9], v[122:123]
	v_add_f64 v[34:35], v[34:35], v[126:127]
	v_fma_f64 v[120:121], v[32:33], s[16:17], v[134:135]
	v_mul_f64 v[122:123], v[132:133], s[4:5]
	v_fma_f64 v[32:33], v[32:33], s[8:9], v[76:77]
	v_mul_f64 v[76:77], v[146:147], s[6:7]
	v_mul_f64 v[126:127], v[154:155], s[14:15]
	v_fma_f64 v[72:73], v[104:105], s[14:15], v[136:137]
	v_add_f64 v[110:111], v[40:41], v[82:83]
	v_fma_f64 v[90:91], v[36:37], s[6:7], v[94:95]
	v_fma_f64 v[94:95], v[128:129], s[6:7], v[138:139]
	v_fma_f64 v[36:37], v[36:37], s[6:7], v[98:99]
	v_fma_f64 v[98:99], v[112:113], s[4:5], -v[114:115]
	v_add_f64 v[82:83], v[40:41], -v[82:83]
	v_add_f64 v[104:105], v[88:89], v[38:39]
	v_add_f64 v[88:89], v[88:89], -v[38:39]
	v_add_f64 v[78:79], v[118:119], v[92:93]
	;; [unrolled: 2-line block ×4, first 2 shown]
	v_fma_f64 v[68:69], v[108:109], s[6:7], v[116:117]
	v_fma_f64 v[64:65], v[108:109], s[6:7], v[74:75]
	v_add_f64 v[112:113], v[66:67], v[100:101]
	v_fma_f64 v[74:75], v[34:35], s[6:7], v[120:121]
	v_fma_f64 v[102:103], v[158:159], s[6:7], v[122:123]
	;; [unrolled: 1-line block ×3, first 2 shown]
	v_fma_f64 v[34:35], v[188:189], s[4:5], -v[76:77]
	v_fma_f64 v[76:77], v[156:157], s[16:17], -v[126:127]
	v_add_f64 v[108:109], v[58:59], v[72:73]
	v_add_f64 v[58:59], v[58:59], -v[72:73]
	v_add_f64 v[66:67], v[66:67], -v[100:101]
	v_add_f64 v[72:73], v[90:91], v[94:95]
	v_add_f64 v[90:91], v[90:91], -v[94:95]
	v_add_f64 v[94:95], v[36:37], v[98:99]
	;; [unrolled: 2-line block ×6, first 2 shown]
	v_add_f64 v[120:121], v[32:33], -v[34:35]
	ds_read2_b64 v[40:43], v213 offset0:104 offset1:204
	ds_read2_b64 v[32:35], v218 offset0:64 offset1:164
	;; [unrolled: 1-line block ×4, first 2 shown]
	v_add_f64 v[118:119], v[64:65], v[76:77]
	v_add_f64 v[64:65], v[64:65], -v[76:77]
	s_waitcnt lgkmcnt(0)
	s_barrier
	buffer_gl0_inv
	ds_write2_b64 v84, v[124:125], v[80:81] offset1:30
	ds_write2_b64 v84, v[78:79], v[110:111] offset0:60 offset1:90
	ds_write2_b64 v84, v[104:105], v[86:87] offset0:120 offset1:150
	ds_write2_b64 v84, v[96:97], v[92:93] offset0:180 offset1:210
	ds_write2_b64 v85, v[82:83], v[88:89] offset0:112 offset1:142
	ds_write2_b64 v186, v[106:107], v[108:109] offset1:30
	ds_write2_b64 v186, v[72:73], v[94:95] offset0:60 offset1:90
	ds_write2_b64 v186, v[112:113], v[62:63] offset0:120 offset1:150
	ds_write2_b64 v186, v[58:59], v[90:91] offset0:180 offset1:210
	ds_write2_b64 v162, v[98:99], v[66:67] offset0:112 offset1:142
	;; [unrolled: 5-line block ×3, first 2 shown]
	s_waitcnt lgkmcnt(0)
	s_barrier
	buffer_gl0_inv
	s_and_saveexec_b32 s20, vcc_lo
	s_cbranch_execz .LBB0_15
; %bb.14:
	v_mul_u32_u24_e32 v48, 9, v208
	buffer_store_dword v49, off, s[36:39], 0 offset:16 ; 4-byte Folded Spill
	buffer_store_dword v50, off, s[36:39], 0 offset:20 ; 4-byte Folded Spill
	v_mul_i32_i24_e32 v66, 9, v210
	v_mov_b32_e32 v67, 0
	v_mov_b32_e32 v94, v148
	v_lshlrev_b32_e32 v48, 4, v48
	v_mov_b32_e32 v95, v149
	v_mul_lo_u32 v50, s19, v166
	v_lshlrev_b64 v[68:69], 4, v[66:67]
	v_mul_i32_i24_e32 v66, 9, v209
	v_add_co_u32 v48, s20, s12, v48
	v_add_co_ci_u32_e64 v49, null, s13, 0, s20
	v_lshlrev_b64 v[66:67], 4, v[66:67]
	v_add_co_u32 v58, vcc_lo, 0x1220, v48
	v_add_co_ci_u32_e32 v59, vcc_lo, 0, v49, vcc_lo
	v_add_co_u32 v78, vcc_lo, 0x1000, v48
	v_add_co_ci_u32_e32 v79, vcc_lo, 0, v49, vcc_lo
	;; [unrolled: 2-line block ×3, first 2 shown]
	s_clause 0x7
	global_load_dwordx4 v[62:65], v[58:59], off offset:32
	global_load_dwordx4 v[70:73], v[58:59], off offset:16
	;; [unrolled: 1-line block ×8, first 2 shown]
	v_add_co_u32 v48, vcc_lo, s12, v68
	v_add_co_ci_u32_e32 v49, vcc_lo, s13, v69, vcc_lo
	global_load_dwordx4 v[116:119], v[78:79], off offset:544
	v_add_co_u32 v58, vcc_lo, 0x1220, v48
	v_add_co_ci_u32_e32 v59, vcc_lo, 0, v49, vcc_lo
	v_add_co_u32 v68, vcc_lo, 0x1260, v48
	v_add_co_ci_u32_e32 v69, vcc_lo, 0, v49, vcc_lo
	s_clause 0x2
	global_load_dwordx4 v[120:123], v[58:59], off offset:16
	global_load_dwordx4 v[124:127], v[58:59], off offset:48
	;; [unrolled: 1-line block ×3, first 2 shown]
	v_add_co_u32 v78, vcc_lo, 0x1000, v48
	v_add_co_ci_u32_e32 v79, vcc_lo, 0, v49, vcc_lo
	v_add_co_u32 v48, vcc_lo, s12, v66
	v_add_co_ci_u32_e32 v49, vcc_lo, s13, v67, vcc_lo
	s_clause 0x3
	global_load_dwordx4 v[132:135], v[68:69], off offset:16
	global_load_dwordx4 v[136:139], v[58:59], off offset:32
	;; [unrolled: 1-line block ×4, first 2 shown]
	v_add_co_u32 v58, vcc_lo, 0x1220, v48
	v_add_co_ci_u32_e32 v59, vcc_lo, 0, v49, vcc_lo
	v_add_co_u32 v66, vcc_lo, 0x1260, v48
	v_add_co_ci_u32_e32 v67, vcc_lo, 0, v49, vcc_lo
	s_clause 0x1
	global_load_dwordx4 v[148:151], v[68:69], off offset:32
	global_load_dwordx4 v[152:155], v[78:79], off offset:544
	v_add_co_u32 v68, vcc_lo, 0x1000, v48
	s_clause 0x2
	global_load_dwordx4 v[156:159], v[58:59], off offset:48
	global_load_dwordx4 v[160:163], v[58:59], off offset:16
	;; [unrolled: 1-line block ×3, first 2 shown]
	v_add_co_ci_u32_e32 v69, vcc_lo, 0, v49, vcc_lo
	s_clause 0x5
	global_load_dwordx4 v[172:175], v[66:67], off offset:48
	global_load_dwordx4 v[176:179], v[58:59], off offset:32
	;; [unrolled: 1-line block ×6, first 2 shown]
	ds_read_b64 v[58:59], v225
	ds_read_b64 v[66:67], v226
	ds_read2_b64 v[196:199], v219 offset0:48 offset1:148
	ds_read2_b64 v[200:203], v230 offset0:60 offset1:160
	;; [unrolled: 1-line block ×6, first 2 shown]
	ds_read_b64 v[78:79], v216
	ds_read_b64 v[96:97], v217
	v_mul_i32_i24_e32 v48, 0xffffffb8, v209
	v_mul_i32_i24_e32 v49, 0xffffffb8, v210
	v_mul_lo_u32 v51, s18, v167
	v_mad_u64_u32 v[68:69], null, s18, v166, 0
	ds_read2_b64 v[230:233], v214 offset0:80 offset1:180
	ds_read2_b64 v[234:237], v213 offset0:104 offset1:204
	ds_read2_b64 v[216:219], v218 offset0:64 offset1:164
	ds_read2_b64 v[238:241], v222 offset0:112 offset1:212
	ds_read2_b64 v[242:245], v215 offset0:152 offset1:252
	ds_read2_b64 v[246:249], v229 offset0:144 offset1:244
	v_add_nc_u32_e32 v49, v212, v49
	v_add3_u32 v69, v69, v51, v50
	buffer_store_dword v68, off, s[36:39], 0 ; 4-byte Folded Spill
	buffer_store_dword v69, off, s[36:39], 0 offset:4 ; 4-byte Folded Spill
	s_waitcnt vmcnt(26) lgkmcnt(14)
	v_mul_f64 v[98:99], v[64:65], v[66:67]
	s_waitcnt vmcnt(25)
	v_mul_f64 v[84:85], v[70:71], v[58:59]
	v_mul_f64 v[166:167], v[62:63], v[66:67]
	s_waitcnt vmcnt(24) lgkmcnt(13)
	v_mul_f64 v[209:210], v[74:75], v[196:197]
	v_mul_f64 v[196:197], v[76:77], v[196:197]
	s_waitcnt vmcnt(23) lgkmcnt(9)
	v_mul_f64 v[213:214], v[90:91], v[204:205]
	s_waitcnt vmcnt(21) lgkmcnt(8)
	v_mul_f64 v[220:221], v[104:105], v[223:224]
	v_mul_f64 v[222:223], v[106:107], v[223:224]
	v_mul_f64 v[204:205], v[92:93], v[204:205]
	v_mul_f64 v[58:59], v[72:73], v[58:59]
	s_waitcnt vmcnt(20)
	v_mul_f64 v[227:228], v[110:111], v[82:83]
	s_waitcnt vmcnt(19)
	v_mul_f64 v[250:251], v[114:115], v[88:89]
	v_mul_f64 v[252:253], v[112:113], v[88:89]
	v_mov_b32_e32 v67, v53
	v_mov_b32_e32 v66, v52
	v_add_nc_u32_e32 v52, v211, v48
	ds_read_b64 v[211:212], v49
	s_waitcnt vmcnt(15)
	v_mul_f64 v[50:51], v[130:131], v[86:87]
	v_fma_f64 v[68:69], v[56:57], v[72:73], v[84:85]
	v_fma_f64 v[84:85], v[54:55], v[62:63], -v[98:99]
	v_fma_f64 v[98:99], v[54:55], v[64:65], v[166:167]
	v_mul_f64 v[54:55], v[108:109], v[82:83]
	v_fma_f64 v[88:89], v[0:1], v[76:77], v[209:210]
	v_fma_f64 v[82:83], v[0:1], v[74:75], -v[196:197]
	v_mul_f64 v[0:1], v[124:125], v[80:81]
	v_mul_f64 v[209:210], v[126:127], v[80:81]
	v_fma_f64 v[80:81], v[4:5], v[106:107], v[220:221]
	v_fma_f64 v[76:77], v[4:5], v[104:105], -v[222:223]
	v_fma_f64 v[4:5], v[12:13], v[90:91], -v[204:205]
	;; [unrolled: 1-line block ×3, first 2 shown]
	s_waitcnt lgkmcnt(7)
	v_mul_f64 v[58:59], v[118:119], v[96:97]
	v_mul_f64 v[64:65], v[116:117], v[96:97]
	v_fma_f64 v[72:73], v[12:13], v[92:93], v[213:214]
	v_fma_f64 v[92:93], v[10:11], v[108:109], -v[227:228]
	s_waitcnt lgkmcnt(6)
	v_mul_f64 v[56:57], v[102:103], v[232:233]
	s_waitcnt vmcnt(7)
	v_mul_f64 v[108:109], v[160:161], v[200:201]
	s_waitcnt vmcnt(4) lgkmcnt(5)
	v_mul_f64 v[204:205], v[176:177], v[234:235]
	v_mul_f64 v[196:197], v[128:129], v[86:87]
	s_waitcnt lgkmcnt(4)
	v_mul_f64 v[166:167], v[142:143], v[218:219]
	v_fma_f64 v[250:251], v[22:23], v[112:113], -v[250:251]
	v_mul_f64 v[62:63], v[100:101], v[232:233]
	v_mul_f64 v[232:233], v[120:121], v[202:203]
	;; [unrolled: 1-line block ×3, first 2 shown]
	v_fma_f64 v[96:97], v[10:11], v[110:111], v[54:55]
	v_mul_f64 v[110:111], v[162:163], v[200:201]
	v_mul_f64 v[200:201], v[178:179], v[234:235]
	ds_read_b64 v[234:235], v52
	buffer_store_dword v4, off, s[36:39], 0 offset:24 ; 4-byte Folded Spill
	buffer_store_dword v5, off, s[36:39], 0 offset:28 ; 4-byte Folded Spill
	v_fma_f64 v[74:75], v[22:23], v[114:115], v[252:253]
	v_mul_f64 v[22:23], v[136:137], v[236:237]
	v_mul_f64 v[114:115], v[172:173], v[206:207]
	;; [unrolled: 1-line block ×3, first 2 shown]
	v_fma_f64 v[116:117], v[60:61], v[116:117], -v[58:59]
	v_fma_f64 v[86:87], v[18:19], v[100:101], -v[56:57]
	v_fma_f64 v[118:119], v[60:61], v[118:119], v[64:65]
	v_fma_f64 v[0:1], v[8:9], v[126:127], v[0:1]
	;; [unrolled: 1-line block ×3, first 2 shown]
	v_fma_f64 v[64:65], v[20:21], v[128:129], -v[50:51]
	v_fma_f64 v[20:21], v[34:35], v[140:141], -v[166:167]
	v_add_f64 v[140:141], v[84:85], -v[250:251]
	v_mul_f64 v[202:203], v[122:123], v[202:203]
	v_fma_f64 v[52:53], v[30:31], v[122:123], v[232:233]
	v_fma_f64 v[122:123], v[16:17], v[134:135], v[254:255]
	v_mul_f64 v[229:230], v[134:135], v[230:231]
	s_waitcnt lgkmcnt(4)
	v_mul_f64 v[104:105], v[146:147], v[240:241]
	s_waitcnt lgkmcnt(3)
	;; [unrolled: 2-line block ×3, first 2 shown]
	v_mul_f64 v[106:107], v[154:155], v[248:249]
	v_mul_f64 v[54:55], v[148:149], v[244:245]
	v_fma_f64 v[90:91], v[18:19], v[102:103], v[62:63]
	v_mul_f64 v[18:19], v[152:153], v[248:249]
	v_mul_f64 v[56:57], v[156:157], v[198:199]
	v_fma_f64 v[50:51], v[42:43], v[138:139], v[22:23]
	v_fma_f64 v[22:23], v[28:29], v[162:163], v[108:109]
	v_fma_f64 v[254:255], v[14:15], v[174:175], v[114:115]
	v_fma_f64 v[28:29], v[28:29], v[160:161], -v[110:111]
	v_add_f64 v[126:127], v[250:251], -v[86:87]
	buffer_store_dword v250, off, s[36:39], 0 offset:8 ; 4-byte Folded Spill
	buffer_store_dword v251, off, s[36:39], 0 offset:12 ; 4-byte Folded Spill
	v_mul_f64 v[62:63], v[158:159], v[198:199]
	v_mul_f64 v[100:101], v[168:169], v[225:226]
	;; [unrolled: 1-line block ×3, first 2 shown]
	s_waitcnt vmcnt(2)
	v_mul_f64 v[218:219], v[186:187], v[216:217]
	s_waitcnt vmcnt(0)
	v_mul_f64 v[224:225], v[194:195], v[246:247]
	v_mul_f64 v[226:227], v[192:193], v[246:247]
	v_fma_f64 v[248:249], v[8:9], v[124:125], -v[209:210]
	v_fma_f64 v[30:31], v[30:31], v[120:121], -v[202:203]
	v_mul_f64 v[215:216], v[184:185], v[216:217]
	v_fma_f64 v[16:17], v[16:17], v[132:133], -v[229:230]
	v_fma_f64 v[60:61], v[46:47], v[144:145], -v[104:105]
	;; [unrolled: 1-line block ×4, first 2 shown]
	v_fma_f64 v[10:11], v[34:35], v[142:143], v[10:11]
	v_fma_f64 v[34:35], v[38:39], v[150:151], v[54:55]
	;; [unrolled: 1-line block ×3, first 2 shown]
	v_mul_f64 v[48:49], v[138:139], v[236:237]
	v_mul_f64 v[220:221], v[190:191], v[242:243]
	;; [unrolled: 1-line block ×6, first 2 shown]
	v_fma_f64 v[2:3], v[2:3], v[156:157], -v[62:63]
	v_fma_f64 v[54:55], v[6:7], v[170:171], v[100:101]
	v_mul_f64 v[222:223], v[188:189], v[242:243]
	v_fma_f64 v[62:63], v[32:33], v[184:185], -v[218:219]
	v_fma_f64 v[106:107], v[24:25], v[192:193], -v[224:225]
	v_fma_f64 v[24:25], v[24:25], v[194:195], v[226:227]
	v_fma_f64 v[18:19], v[26:27], v[154:155], v[18:19]
	v_add_f64 v[170:171], v[30:31], -v[64:65]
	v_add_f64 v[217:218], v[30:31], -v[248:249]
	v_add_f64 v[225:226], v[248:249], -v[30:31]
	v_add_f64 v[229:230], v[30:31], v[64:65]
	v_add_f64 v[227:228], v[16:17], -v[64:65]
	v_fma_f64 v[56:57], v[40:41], v[176:177], -v[200:201]
	v_fma_f64 v[40:41], v[40:41], v[178:179], v[204:205]
	v_fma_f64 v[32:33], v[32:33], v[186:187], v[215:216]
	v_add_f64 v[176:177], v[60:61], -v[12:13]
	v_fma_f64 v[48:49], v[42:43], v[136:137], -v[48:49]
	v_fma_f64 v[42:43], v[6:7], v[168:169], -v[102:103]
	;; [unrolled: 1-line block ×3, first 2 shown]
	v_add_f64 v[219:220], v[64:65], -v[16:17]
	v_fma_f64 v[46:47], v[46:47], v[146:147], v[112:113]
	v_fma_f64 v[252:253], v[14:15], v[172:173], -v[198:199]
	v_fma_f64 v[100:101], v[44:45], v[180:181], -v[206:207]
	v_fma_f64 v[44:45], v[44:45], v[182:183], v[213:214]
	v_fma_f64 v[36:37], v[36:37], v[190:191], v[222:223]
	v_add_f64 v[172:173], v[0:1], v[122:123]
	v_add_f64 v[178:179], v[20:21], v[12:13]
	v_add_f64 v[184:185], v[50:51], -v[10:11]
	v_add_f64 v[198:199], v[52:53], v[58:59]
	v_add_f64 v[202:203], v[12:13], -v[60:61]
	v_add_f64 v[124:125], v[84:85], -v[92:93]
	v_add_f64 v[128:129], v[92:93], v[86:87]
	v_add_f64 v[134:135], v[98:99], -v[96:97]
	;; [unrolled: 3-line block ×3, first 2 shown]
	s_waitcnt lgkmcnt(1)
	v_add_f64 v[215:216], v[52:53], v[211:212]
	v_add_f64 v[26:27], v[50:51], v[18:19]
	v_add_f64 v[174:175], v[48:49], -v[20:21]
	v_add_f64 v[200:201], v[20:21], -v[48:49]
	v_add_f64 v[204:205], v[48:49], v[60:61]
	v_add_f64 v[190:191], v[48:49], -v[60:61]
	v_add_f64 v[186:187], v[46:47], -v[34:35]
	;; [unrolled: 1-line block ×3, first 2 shown]
	v_add_f64 v[213:214], v[50:51], v[46:47]
	v_add_f64 v[221:222], v[248:249], v[16:17]
	;; [unrolled: 1-line block ×3, first 2 shown]
	v_add_f64 v[231:232], v[22:23], -v[38:39]
	v_add_f64 v[236:237], v[254:255], -v[54:55]
	v_add_f64 v[242:243], v[38:39], v[54:55]
	v_add_f64 v[244:245], v[56:57], -v[62:63]
	v_add_f64 v[246:247], v[100:101], -v[102:103]
	v_fma_f64 v[172:173], v[172:173], -0.5, v[211:212]
	v_fma_f64 v[198:199], v[198:199], -0.5, v[211:212]
	v_add_f64 v[211:212], v[38:39], -v[22:23]
	v_fma_f64 v[178:179], v[178:179], -0.5, v[104:105]
	v_add_f64 v[130:131], v[98:99], -v[74:75]
	v_add_f64 v[162:163], v[52:53], -v[0:1]
	;; [unrolled: 1-line block ×4, first 2 shown]
	v_add_f64 v[174:175], v[174:175], v[176:177]
	v_add_f64 v[176:177], v[40:41], -v[32:33]
	v_add_f64 v[200:201], v[200:201], v[202:203]
	v_add_f64 v[202:203], v[54:55], -v[254:255]
	;; [unrolled: 2-line block ×3, first 2 shown]
	v_fma_f64 v[104:105], v[204:205], -0.5, v[104:105]
	v_add_f64 v[204:205], v[22:23], v[254:255]
	v_add_f64 v[180:181], v[50:51], -v[46:47]
	v_add_f64 v[182:183], v[10:11], -v[34:35]
	;; [unrolled: 1-line block ×7, first 2 shown]
	v_add_f64 v[124:125], v[124:125], v[126:127]
	v_add_f64 v[126:127], v[62:63], v[102:103]
	;; [unrolled: 1-line block ×3, first 2 shown]
	v_add_f64 v[136:137], v[40:41], -v[44:45]
	v_add_f64 v[206:207], v[206:207], v[209:210]
	v_add_f64 v[209:210], v[62:63], -v[56:57]
	v_fma_f64 v[192:193], v[192:193], -0.5, v[18:19]
	v_fma_f64 v[18:19], v[213:214], -0.5, v[18:19]
	v_add_f64 v[213:214], v[102:103], -v[100:101]
	v_add_f64 v[0:1], v[0:1], v[215:216]
	v_add_f64 v[215:216], v[56:57], v[100:101]
	;; [unrolled: 1-line block ×3, first 2 shown]
	v_add_f64 v[26:27], v[32:33], -v[40:41]
	v_add_f64 v[225:226], v[225:226], v[227:228]
	v_add_f64 v[227:228], v[40:41], v[44:45]
	;; [unrolled: 1-line block ×6, first 2 shown]
	v_add_f64 v[246:247], v[2:3], -v[28:29]
	v_add_f64 v[176:177], v[176:177], v[186:187]
	v_add_f64 v[186:187], v[42:43], -v[252:253]
	v_add_f64 v[202:203], v[211:212], v[202:203]
	v_add_f64 v[211:212], v[28:29], v[252:253]
	s_waitcnt lgkmcnt(0)
	v_fma_f64 v[242:243], v[242:243], -0.5, v[234:235]
	v_fma_f64 v[204:205], v[204:205], -0.5, v[234:235]
	v_fma_f64 v[128:129], v[128:129], -0.5, v[116:117]
	v_add_f64 v[132:133], v[96:97], -v[90:91]
	v_add_f64 v[52:53], v[52:53], -v[58:59]
	;; [unrolled: 1-line block ×3, first 2 shown]
	v_add_f64 v[162:163], v[162:163], v[166:167]
	v_add_f64 v[166:167], v[32:33], -v[36:37]
	v_add_f64 v[194:195], v[194:195], v[196:197]
	v_add_f64 v[196:197], v[32:33], v[36:37]
	;; [unrolled: 1-line block ×3, first 2 shown]
	v_add_f64 v[213:214], v[62:63], -v[102:103]
	v_fma_f64 v[126:127], v[126:127], -0.5, v[106:107]
	v_add_f64 v[32:33], v[32:33], v[40:41]
	v_add_f64 v[10:11], v[34:35], v[10:11]
	v_fma_f64 v[40:41], v[236:237], -0.5, v[94:95]
	v_fma_f64 v[34:35], v[188:189], s[4:5], v[18:19]
	v_fma_f64 v[18:19], v[188:189], s[0:1], v[18:19]
	v_add_f64 v[217:218], v[217:218], v[219:220]
	v_add_f64 v[219:220], v[36:37], -v[44:45]
	v_add_f64 v[0:1], v[122:123], v[0:1]
	v_fma_f64 v[122:123], v[182:183], s[0:1], v[104:105]
	v_fma_f64 v[104:105], v[182:183], s[4:5], v[104:105]
	v_add_f64 v[142:143], v[96:97], v[90:91]
	v_add_f64 v[156:157], v[98:99], v[74:75]
	v_add_f64 v[138:139], v[92:93], -v[86:87]
	v_add_f64 v[120:121], v[88:89], v[80:81]
	v_add_f64 v[144:145], v[68:69], v[72:73]
	v_add_f64 v[146:147], v[92:93], -v[84:85]
	v_add_f64 v[152:153], v[96:97], -v[98:99]
	;; [unrolled: 1-line block ×3, first 2 shown]
	v_fma_f64 v[196:197], v[196:197], -0.5, v[24:25]
	v_add_f64 v[108:109], v[68:69], -v[88:89]
	v_add_f64 v[110:111], v[72:73], -v[80:81]
	v_add_f64 v[158:159], v[82:83], v[76:77]
	v_add_f64 v[32:33], v[36:37], v[32:33]
	v_fma_f64 v[36:37], v[136:137], s[4:5], v[126:127]
	v_fma_f64 v[126:127], v[136:137], s[0:1], v[126:127]
	;; [unrolled: 1-line block ×4, first 2 shown]
	v_add_f64 v[10:11], v[46:47], v[10:11]
	v_add_f64 v[26:27], v[26:27], v[219:220]
	;; [unrolled: 1-line block ×3, first 2 shown]
	v_fma_f64 v[122:123], v[180:181], s[16:17], v[122:123]
	v_fma_f64 v[104:105], v[180:181], s[8:9], v[104:105]
	v_fma_f64 v[142:143], v[142:143], -0.5, v[118:119]
	v_fma_f64 v[156:157], v[156:157], -0.5, v[118:119]
	v_add_f64 v[98:99], v[98:99], v[118:119]
	v_fma_f64 v[120:121], v[120:121], -0.5, v[78:79]
	v_add_f64 v[112:113], v[82:83], -v[76:77]
	v_add_f64 v[108:109], v[108:109], v[110:111]
	v_fma_f64 v[126:127], v[166:167], s[8:9], v[126:127]
	v_fma_f64 v[34:35], v[206:207], s[6:7], v[34:35]
	;; [unrolled: 1-line block ×7, first 2 shown]
	v_add_f64 v[114:115], v[70:71], -v[4:5]
	v_add_f64 v[160:161], v[70:71], v[4:5]
	s_clause 0x1
	buffer_load_dword v4, off, s[36:39], 0 offset:16
	buffer_load_dword v5, off, s[36:39], 0 offset:20
	v_add_f64 v[148:149], v[86:87], -v[250:251]
	v_add_f64 v[150:151], v[84:85], v[250:251]
	v_add_f64 v[84:85], v[84:85], v[116:117]
	v_fma_f64 v[150:151], v[150:151], -0.5, v[116:117]
	v_add_f64 v[84:85], v[92:93], v[84:85]
	v_add_f64 v[84:85], v[86:87], v[84:85]
	s_waitcnt vmcnt(0)
	v_add_f64 v[30:31], v[4:5], v[30:31]
	v_fma_f64 v[221:222], v[221:222], -0.5, v[4:5]
	v_fma_f64 v[50:51], v[229:230], -0.5, v[4:5]
	v_add_f64 v[229:230], v[22:23], v[234:235]
	v_add_f64 v[4:5], v[20:21], v[48:49]
	v_add_f64 v[48:49], v[252:253], -v[42:43]
	v_add_f64 v[233:234], v[56:57], v[106:107]
	v_fma_f64 v[106:107], v[215:216], -0.5, v[106:107]
	v_add_f64 v[215:216], v[38:39], -v[54:55]
	v_fma_f64 v[20:21], v[227:228], -0.5, v[24:25]
	v_fma_f64 v[235:236], v[180:181], s[4:5], v[178:179]
	v_add_f64 v[56:57], v[56:57], -v[100:101]
	v_add_f64 v[22:23], v[22:23], -v[254:255]
	v_fma_f64 v[178:179], v[180:181], s[0:1], v[178:179]
	v_fma_f64 v[24:25], v[166:167], s[16:17], v[36:37]
	;; [unrolled: 1-line block ×4, first 2 shown]
	v_add_f64 v[8:9], v[30:31], v[248:249]
	v_add_f64 v[30:31], v[28:29], -v[2:3]
	v_add_f64 v[28:29], v[94:95], v[28:29]
	v_add_f64 v[38:39], v[38:39], v[229:230]
	v_fma_f64 v[248:249], v[168:169], s[4:5], v[198:199]
	v_fma_f64 v[198:199], v[168:169], s[0:1], v[198:199]
	v_add_f64 v[4:5], v[12:13], v[4:5]
	v_fma_f64 v[12:13], v[223:224], s[0:1], v[50:51]
	v_fma_f64 v[50:51], v[223:224], s[4:5], v[50:51]
	;; [unrolled: 1-line block ×10, first 2 shown]
	v_add_f64 v[142:143], v[66:67], v[70:71]
	v_add_f64 v[8:9], v[8:9], v[16:17]
	;; [unrolled: 1-line block ×6, first 2 shown]
	v_fma_f64 v[62:63], v[130:131], s[4:5], v[128:129]
	v_fma_f64 v[233:234], v[170:171], s[0:1], v[172:173]
	;; [unrolled: 1-line block ×6, first 2 shown]
	v_add_f64 v[38:39], v[54:55], v[38:39]
	v_fma_f64 v[54:55], v[240:241], s[0:1], v[242:243]
	v_fma_f64 v[248:249], v[170:171], s[8:9], v[248:249]
	v_fma_f64 v[170:171], v[170:171], s[16:17], v[198:199]
	v_fma_f64 v[198:199], v[166:167], s[0:1], v[106:107]
	v_fma_f64 v[190:191], v[213:214], s[4:5], v[20:21]
	v_fma_f64 v[20:21], v[213:214], s[0:1], v[20:21]
	v_fma_f64 v[106:107], v[166:167], s[4:5], v[106:107]
	v_fma_f64 v[186:187], v[211:212], -0.5, v[94:95]
	v_fma_f64 v[221:222], v[52:53], s[0:1], v[221:222]
	v_fma_f64 v[12:13], v[52:53], s[16:17], v[12:13]
	v_add_f64 v[8:9], v[64:65], v[8:9]
	s_clause 0x1
	buffer_load_dword v64, off, s[36:39], 0 offset:24
	buffer_load_dword v65, off, s[36:39], 0 offset:28
	v_add_f64 v[166:167], v[44:45], v[32:33]
	v_add_f64 v[2:3], v[2:3], v[42:43]
	;; [unrolled: 1-line block ×3, first 2 shown]
	v_fma_f64 v[250:251], v[132:133], s[16:17], v[62:63]
	v_fma_f64 v[233:234], v[168:169], s[8:9], v[233:234]
	;; [unrolled: 1-line block ×21, first 2 shown]
	v_add_f64 v[100:101], v[100:101], v[28:29]
	v_mul_f64 v[190:191], v[18:19], s[0:1]
	v_fma_f64 v[28:29], v[162:163], s[6:7], v[233:234]
	v_fma_f64 v[14:15], v[174:175], s[6:7], v[62:63]
	;; [unrolled: 1-line block ×16, first 2 shown]
	v_add_f64 v[4:5], v[60:61], v[4:5]
	v_fma_f64 v[60:61], v[240:241], s[16:17], v[204:205]
	v_add_f64 v[136:137], v[254:255], v[38:39]
	v_fma_f64 v[38:39], v[22:23], s[16:17], v[172:173]
	v_fma_f64 v[22:23], v[22:23], s[8:9], v[186:187]
	v_add_f64 v[172:173], v[252:253], v[2:3]
	v_add_f64 v[2:3], v[58:59], -v[10:11]
	v_fma_f64 v[42:43], v[217:218], s[6:7], v[42:43]
	v_fma_f64 v[6:7], v[176:177], s[6:7], v[6:7]
	v_mul_f64 v[126:127], v[44:45], s[14:15]
	v_mul_f64 v[192:193], v[168:169], s[8:9]
	v_fma_f64 v[106:107], v[176:177], s[6:7], v[106:107]
	v_mul_f64 v[176:177], v[34:35], s[6:7]
	v_mul_f64 v[182:183], v[104:105], s[4:5]
	;; [unrolled: 1-line block ×4, first 2 shown]
	v_add_f64 v[26:27], v[58:59], v[10:11]
	v_fma_f64 v[196:197], v[202:203], s[6:7], v[36:37]
	v_mul_f64 v[36:37], v[54:55], s[16:17]
	v_mul_f64 v[58:59], v[56:57], s[14:15]
	;; [unrolled: 1-line block ×4, first 2 shown]
	v_fma_f64 v[104:105], v[104:105], s[6:7], v[190:191]
	v_fma_f64 v[128:129], v[130:131], s[0:1], v[128:129]
	;; [unrolled: 1-line block ×3, first 2 shown]
	v_add_f64 v[0:1], v[8:9], -v[4:5]
	v_add_f64 v[24:25], v[8:9], v[4:5]
	v_fma_f64 v[60:61], v[202:203], s[6:7], v[60:61]
	v_mul_f64 v[8:9], v[12:13], s[6:7]
	v_mul_f64 v[10:11], v[16:17], s[4:5]
	;; [unrolled: 1-line block ×3, first 2 shown]
	v_fma_f64 v[126:127], v[14:15], s[16:17], -v[126:127]
	v_fma_f64 v[122:123], v[122:123], s[14:15], v[192:193]
	v_mul_f64 v[202:203], v[106:107], s[8:9]
	v_fma_f64 v[62:63], v[62:63], s[4:5], -v[176:177]
	v_fma_f64 v[176:177], v[18:19], s[6:7], v[182:183]
	v_fma_f64 v[168:169], v[168:169], s[14:15], v[184:185]
	v_fma_f64 v[182:183], v[34:35], s[0:1], -v[188:189]
	v_fma_f64 v[184:185], v[30:31], s[6:7], v[32:33]
	v_fma_f64 v[188:189], v[48:49], s[6:7], v[22:23]
	;; [unrolled: 1-line block ×3, first 2 shown]
	v_fma_f64 v[209:210], v[6:7], s[8:9], -v[58:59]
	v_fma_f64 v[198:199], v[12:13], s[0:1], -v[198:199]
	v_fma_f64 v[200:201], v[16:17], s[6:7], v[200:201]
	v_add_f64 v[12:13], v[180:181], -v[104:105]
	v_add_f64 v[32:33], v[180:181], v[104:105]
	v_fma_f64 v[104:105], v[144:145], -0.5, v[78:79]
	v_add_f64 v[144:145], v[146:147], v[148:149]
	v_fma_f64 v[146:147], v[130:131], s[8:9], v[150:151]
	v_add_f64 v[78:79], v[68:69], v[78:79]
	v_fma_f64 v[130:131], v[130:131], s[16:17], v[227:228]
	v_fma_f64 v[110:111], v[132:133], s[8:9], v[128:129]
	v_fma_f64 v[128:129], v[158:159], -0.5, v[66:67]
	v_add_f64 v[6:7], v[28:29], -v[126:127]
	v_add_f64 v[16:17], v[42:43], -v[122:123]
	v_add_f64 v[22:23], v[28:29], v[126:127]
	v_add_f64 v[36:37], v[42:43], v[122:123]
	;; [unrolled: 1-line block ×3, first 2 shown]
	v_fma_f64 v[126:127], v[140:141], s[8:9], v[229:230]
	v_fma_f64 v[140:141], v[140:141], s[16:17], v[156:157]
	v_add_f64 v[150:151], v[88:89], -v[80:81]
	v_fma_f64 v[152:153], v[160:161], -0.5, v[66:67]
	v_fma_f64 v[154:155], v[134:135], s[6:7], v[219:220]
	v_add_f64 v[94:95], v[88:89], -v[68:69]
	v_add_f64 v[66:67], v[82:83], -v[70:71]
	v_fma_f64 v[134:135], v[134:135], s[6:7], v[138:139]
	v_add_f64 v[156:157], v[80:81], -v[72:73]
	v_add_f64 v[132:133], v[68:69], -v[72:73]
	v_fma_f64 v[116:117], v[112:113], s[4:5], v[104:105]
	v_fma_f64 v[211:212], v[114:115], s[0:1], v[120:121]
	;; [unrolled: 1-line block ×3, first 2 shown]
	v_add_f64 v[78:79], v[88:89], v[78:79]
	v_add_f64 v[88:89], v[96:97], v[98:99]
	v_add_f64 v[96:97], v[70:71], -v[82:83]
	v_fma_f64 v[130:131], v[144:145], s[6:7], v[130:131]
	v_add_f64 v[82:83], v[142:143], v[82:83]
	v_fma_f64 v[110:111], v[124:125], s[6:7], v[110:111]
	v_fma_f64 v[120:121], v[114:115], s[4:5], v[120:121]
	;; [unrolled: 1-line block ×10, first 2 shown]
	v_mul_f64 v[152:153], v[154:155], s[14:15]
	v_mul_f64 v[142:143], v[134:135], s[8:9]
	v_add_f64 v[92:93], v[94:95], v[156:157]
	v_fma_f64 v[124:125], v[132:133], s[4:5], v[128:129]
	v_fma_f64 v[94:95], v[114:115], s[8:9], v[116:117]
	;; [unrolled: 1-line block ×4, first 2 shown]
	v_add_f64 v[78:79], v[80:81], v[78:79]
	v_add_f64 v[80:81], v[90:91], v[88:89]
	v_fma_f64 v[202:203], v[54:55], s[14:15], v[202:203]
	v_mul_f64 v[138:139], v[130:131], s[6:7]
	v_add_f64 v[82:83], v[82:83], v[76:77]
	v_fma_f64 v[46:47], v[194:195], s[6:7], v[248:249]
	v_fma_f64 v[112:113], v[112:113], s[16:17], v[120:121]
	v_mul_f64 v[120:121], v[110:111], s[16:17]
	v_fma_f64 v[102:103], v[238:239], s[16:17], v[242:243]
	v_mul_f64 v[116:117], v[126:127], s[6:7]
	v_mul_f64 v[140:141], v[122:123], s[0:1]
	v_fma_f64 v[104:105], v[114:115], s[16:17], v[104:105]
	v_mul_f64 v[114:115], v[146:147], s[4:5]
	v_add_f64 v[54:55], v[60:61], -v[206:207]
	v_fma_f64 v[170:171], v[194:195], s[6:7], v[170:171]
	v_fma_f64 v[194:195], v[231:232], s[6:7], v[50:51]
	v_add_f64 v[50:51], v[136:137], -v[166:167]
	v_mul_f64 v[186:187], v[14:15], s[14:15]
	v_fma_f64 v[90:91], v[150:151], s[16:17], v[124:125]
	v_fma_f64 v[124:125], v[132:133], s[16:17], v[160:161]
	;; [unrolled: 1-line block ×4, first 2 shown]
	v_fma_f64 v[144:145], v[148:149], s[16:17], -v[152:153]
	v_add_f64 v[150:151], v[74:75], v[80:81]
	v_add_f64 v[80:81], v[136:137], v[166:167]
	v_fma_f64 v[126:127], v[126:127], s[0:1], -v[138:139]
	v_fma_f64 v[118:119], v[108:109], s[6:7], v[118:119]
	v_fma_f64 v[40:41], v[215:216], s[8:9], v[40:41]
	v_fma_f64 v[204:205], v[52:53], s[4:5], -v[8:9]
	v_fma_f64 v[120:121], v[134:135], s[14:15], v[120:121]
	v_add_f64 v[134:135], v[72:73], v[78:79]
	v_fma_f64 v[102:103], v[231:232], s[6:7], v[102:103]
	v_fma_f64 v[138:139], v[146:147], s[6:7], v[140:141]
	v_fma_f64 v[140:141], v[110:111], s[14:15], v[142:143]
	v_fma_f64 v[116:117], v[130:131], s[4:5], -v[116:117]
	v_fma_f64 v[130:131], v[92:93], s[6:7], v[104:105]
	v_fma_f64 v[114:115], v[122:123], s[6:7], v[114:115]
	;; [unrolled: 1-line block ×3, first 2 shown]
	v_add_f64 v[74:75], v[188:189], v[200:201]
	v_fma_f64 v[44:45], v[44:45], s[8:9], -v[186:187]
	v_fma_f64 v[186:187], v[48:49], s[6:7], v[38:39]
	v_add_f64 v[48:49], v[172:173], -v[100:101]
	v_fma_f64 v[192:193], v[56:57], s[16:17], -v[4:5]
	v_add_f64 v[10:11], v[46:47], -v[62:63]
	v_add_f64 v[52:53], v[188:189], -v[200:201]
	v_add_f64 v[38:39], v[162:163], v[168:169]
	v_add_f64 v[34:35], v[170:171], v[176:177]
	;; [unrolled: 1-line block ×4, first 2 shown]
	v_fma_f64 v[190:191], v[30:31], s[6:7], v[40:41]
	v_add_f64 v[30:31], v[46:47], v[62:63]
	v_add_f64 v[46:47], v[196:197], -v[204:205]
	v_add_f64 v[40:41], v[184:185], -v[209:210]
	;; [unrolled: 1-line block ×3, first 2 shown]
	v_add_f64 v[72:73], v[102:103], v[106:107]
	v_add_f64 v[18:19], v[162:163], -v[168:169]
	v_add_f64 v[14:15], v[170:171], -v[176:177]
	;; [unrolled: 1-line block ×3, first 2 shown]
	v_add_f64 v[112:113], v[130:131], v[114:115]
	v_add_f64 v[4:5], v[174:175], -v[44:45]
	v_add_f64 v[20:21], v[174:175], v[44:45]
	v_add_f64 v[44:45], v[186:187], -v[198:199]
	;; [unrolled: 2-line block ×4, first 2 shown]
	s_waitcnt vmcnt(0)
	v_add_f64 v[98:99], v[64:65], -v[76:77]
	v_add_f64 v[158:159], v[76:77], -v[64:65]
	v_add_f64 v[142:143], v[64:65], v[82:83]
	s_clause 0x3
	buffer_load_dword v64, off, s[36:39], 0 offset:8
	buffer_load_dword v65, off, s[36:39], 0 offset:12
	buffer_load_dword v68, off, s[36:39], 0
	buffer_load_dword v69, off, s[36:39], 0 offset:4
	v_add_f64 v[76:77], v[60:61], v[206:207]
	v_mul_hi_u32 v60, 0x1b4e81b5, v208
	v_lshrrev_b32_e32 v78, 5, v60
	v_add_f64 v[60:61], v[184:185], v[209:210]
	v_mul_u32_u24_e32 v82, 0x12c, v78
	v_add_f64 v[78:79], v[172:173], v[100:101]
	v_add_f64 v[100:101], v[134:135], -v[150:151]
	v_add_f64 v[88:89], v[96:97], v[98:99]
	v_add_f64 v[98:99], v[66:67], v[158:159]
	v_mul_f64 v[96:97], v[148:149], s[14:15]
	v_fma_f64 v[148:149], v[92:93], s[6:7], v[94:95]
	v_sub_nc_u32_e32 v156, v208, v82
	v_add_f64 v[92:93], v[130:131], -v[114:115]
	v_add_f64 v[66:67], v[196:197], v[204:205]
	v_mad_u64_u32 v[136:137], null, s2, v156, 0
	v_add_nc_u32_e32 v130, 0x12c, v156
	v_add_nc_u32_e32 v131, 0x258, v156
	v_mov_b32_e32 v102, v137
	v_fma_f64 v[128:129], v[88:89], s[6:7], v[128:129]
	v_fma_f64 v[124:125], v[98:99], s[6:7], v[124:125]
	;; [unrolled: 1-line block ×4, first 2 shown]
	v_fma_f64 v[154:155], v[154:155], s[8:9], -v[96:97]
	v_add_f64 v[88:89], v[148:149], -v[116:117]
	v_add_f64 v[96:97], v[122:123], -v[120:121]
	v_add_f64 v[108:109], v[148:149], v[116:117]
	v_add_f64 v[116:117], v[122:123], v[120:121]
	v_mad_u64_u32 v[122:123], null, s3, v156, v[102:103]
	v_add_f64 v[120:121], v[134:135], v[150:151]
	v_add_nc_u32_e32 v135, 0x4b0, v156
	v_mov_b32_e32 v137, v122
	v_add_f64 v[94:95], v[128:129], -v[140:141]
	v_add_f64 v[86:87], v[124:125], -v[126:127]
	v_add_f64 v[106:107], v[124:125], v[126:127]
	v_mad_u64_u32 v[123:124], null, s2, v130, 0
	v_add_f64 v[114:115], v[128:129], v[140:141]
	v_mad_u64_u32 v[127:128], null, s2, v131, 0
	v_lshlrev_b64 v[125:126], 4, v[164:165]
	v_add_f64 v[90:91], v[132:133], -v[138:139]
	v_add_f64 v[110:111], v[132:133], v[138:139]
	v_mov_b32_e32 v122, v124
	v_add_nc_u32_e32 v133, 0x384, v156
	v_add_f64 v[102:103], v[152:153], v[154:155]
	v_add_f64 v[82:83], v[152:153], -v[154:155]
	v_mad_u64_u32 v[129:130], null, s3, v130, v[122:123]
	v_mov_b32_e32 v122, v128
	v_mov_b32_e32 v124, v129
	v_mad_u64_u32 v[128:129], null, s3, v131, v[122:123]
	v_mad_u64_u32 v[129:130], null, s2, v133, 0
	;; [unrolled: 1-line block ×3, first 2 shown]
	v_lshlrev_b64 v[122:123], 4, v[123:124]
	v_lshlrev_b64 v[127:128], 4, v[127:128]
	v_mov_b32_e32 v124, v130
	s_waitcnt vmcnt(2)
	v_add_f64 v[146:147], v[64:65], v[84:85]
	s_waitcnt vmcnt(0)
	v_lshlrev_b64 v[68:69], 4, v[68:69]
	v_add_f64 v[84:85], v[118:119], -v[144:145]
	v_add_f64 v[64:65], v[186:187], v[198:199]
	v_add_co_u32 v68, vcc_lo, s10, v68
	v_add_co_ci_u32_e32 v69, vcc_lo, s11, v69, vcc_lo
	v_add_co_u32 v68, vcc_lo, v68, v125
	v_add_co_ci_u32_e32 v69, vcc_lo, v69, v126, vcc_lo
	v_lshlrev_b64 v[125:126], 4, v[136:137]
	v_add_nc_u32_e32 v137, 0x5dc, v156
	v_add_f64 v[118:119], v[142:143], v[146:147]
	v_add_co_u32 v125, vcc_lo, v68, v125
	v_add_co_ci_u32_e32 v126, vcc_lo, v69, v126, vcc_lo
	v_add_co_u32 v122, vcc_lo, v68, v122
	v_mad_u64_u32 v[133:134], null, s3, v133, v[124:125]
	v_mov_b32_e32 v124, v132
	v_add_co_ci_u32_e32 v123, vcc_lo, v69, v123, vcc_lo
	v_add_co_u32 v127, vcc_lo, v68, v127
	v_add_co_ci_u32_e32 v128, vcc_lo, v69, v128, vcc_lo
	v_mad_u64_u32 v[134:135], null, s3, v135, v[124:125]
	v_mad_u64_u32 v[135:136], null, s2, v137, 0
	global_store_dwordx4 v[125:126], v[118:121], off
	global_store_dwordx4 v[122:123], v[114:117], off
	;; [unrolled: 1-line block ×3, first 2 shown]
	v_add_nc_u32_e32 v120, 0x708, v156
	v_mov_b32_e32 v130, v133
	v_mov_b32_e32 v132, v134
	;; [unrolled: 1-line block ×3, first 2 shown]
	v_add_nc_u32_e32 v122, 0x834, v156
	v_mad_u64_u32 v[113:114], null, s2, v120, 0
	v_lshlrev_b64 v[110:111], 4, v[129:130]
	v_lshlrev_b64 v[115:116], 4, v[131:132]
	v_add_f64 v[98:99], v[142:143], -v[146:147]
	v_mad_u64_u32 v[117:118], null, s3, v137, v[112:113]
	v_mov_b32_e32 v112, v114
	v_add_co_u32 v110, vcc_lo, v68, v110
	v_add_co_ci_u32_e32 v111, vcc_lo, v69, v111, vcc_lo
	v_add_co_u32 v114, vcc_lo, v68, v115
	v_mad_u64_u32 v[120:121], null, s3, v120, v[112:113]
	v_add_nc_u32_e32 v112, 0x64, v208
	v_mad_u64_u32 v[118:119], null, s2, v122, 0
	v_add_co_ci_u32_e32 v115, vcc_lo, v69, v116, vcc_lo
	v_mov_b32_e32 v136, v117
	global_store_dwordx4 v[110:111], v[106:109], off
	global_store_dwordx4 v[114:115], v[102:105], off
	v_mul_hi_u32 v108, 0x1b4e81b5, v112
	v_mov_b32_e32 v102, v119
	v_lshlrev_b64 v[103:104], 4, v[135:136]
	v_add_nc_u32_e32 v115, 0x960, v156
	v_mov_b32_e32 v114, v120
	v_add_nc_u32_e32 v117, 0xa8c, v156
	v_lshrrev_b32_e32 v116, 5, v108
	v_mad_u64_u32 v[105:106], null, s3, v122, v[102:103]
	v_mad_u64_u32 v[106:107], null, s2, v115, 0
	v_lshlrev_b64 v[108:109], 4, v[113:114]
	v_mul_u32_u24_e32 v113, 0x12c, v116
	v_add_co_u32 v102, vcc_lo, v68, v103
	v_add_co_ci_u32_e32 v103, vcc_lo, v69, v104, vcc_lo
	v_mov_b32_e32 v119, v105
	v_mov_b32_e32 v104, v107
	v_sub_nc_u32_e32 v105, v112, v113
	v_mad_u64_u32 v[110:111], null, s2, v117, 0
	v_lshlrev_b64 v[112:113], 4, v[118:119]
	v_add_co_u32 v108, vcc_lo, v68, v108
	v_mad_u32_u24 v118, 0xbb8, v116, v105
	v_mad_u64_u32 v[104:105], null, s3, v115, v[104:105]
	v_add_co_ci_u32_e32 v109, vcc_lo, v69, v109, vcc_lo
	v_mad_u64_u32 v[114:115], null, s2, v118, 0
	v_mov_b32_e32 v105, v111
	v_add_co_u32 v111, vcc_lo, v68, v112
	v_mov_b32_e32 v107, v104
	v_add_co_ci_u32_e32 v112, vcc_lo, v69, v113, vcc_lo
	global_store_dwordx4 v[102:103], v[98:101], off
	global_store_dwordx4 v[108:109], v[94:97], off
	;; [unrolled: 1-line block ×3, first 2 shown]
	v_lshlrev_b64 v[91:92], 4, v[106:107]
	v_mov_b32_e32 v90, v115
	v_mad_u64_u32 v[116:117], null, s3, v117, v[105:106]
	v_add_nc_u32_e32 v100, 0x12c, v118
	v_add_nc_u32_e32 v102, 0x258, v118
	v_mad_u64_u32 v[93:94], null, s3, v118, v[90:91]
	v_add_co_u32 v90, vcc_lo, v68, v91
	v_mov_b32_e32 v111, v116
	v_mad_u64_u32 v[94:95], null, s2, v100, 0
	v_mad_u64_u32 v[96:97], null, s2, v102, 0
	v_mov_b32_e32 v115, v93
	v_add_co_ci_u32_e32 v91, vcc_lo, v69, v92, vcc_lo
	v_lshlrev_b64 v[92:93], 4, v[110:111]
	v_add_nc_u32_e32 v103, 0x384, v118
	v_lshlrev_b64 v[98:99], 4, v[114:115]
	v_mad_u64_u32 v[100:101], null, s3, v100, v[95:96]
	v_add_co_u32 v92, vcc_lo, v68, v92
	v_add_co_ci_u32_e32 v93, vcc_lo, v69, v93, vcc_lo
	v_add_co_u32 v98, vcc_lo, v68, v98
	v_add_co_ci_u32_e32 v99, vcc_lo, v69, v99, vcc_lo
	v_mov_b32_e32 v95, v100
	v_mad_u64_u32 v[100:101], null, s3, v102, v[97:98]
	v_mad_u64_u32 v[101:102], null, s2, v103, 0
	global_store_dwordx4 v[90:91], v[86:89], off
	global_store_dwordx4 v[92:93], v[82:85], off
	;; [unrolled: 1-line block ×3, first 2 shown]
	v_add_nc_u32_e32 v88, 0x4b0, v118
	v_add_nc_u32_e32 v89, 0x5dc, v118
	v_lshlrev_b64 v[78:79], 4, v[94:95]
	v_mov_b32_e32 v97, v100
	v_mad_u64_u32 v[81:82], null, s2, v88, 0
	v_mov_b32_e32 v80, v102
	v_mad_u64_u32 v[83:84], null, s2, v89, 0
	v_add_co_u32 v78, vcc_lo, v68, v78
	v_add_co_ci_u32_e32 v79, vcc_lo, v69, v79, vcc_lo
	v_mad_u64_u32 v[85:86], null, s3, v103, v[80:81]
	v_mov_b32_e32 v80, v82
	v_lshlrev_b64 v[86:87], 4, v[96:97]
	v_mov_b32_e32 v82, v84
	global_store_dwordx4 v[78:79], v[70:73], off
	v_mov_b32_e32 v102, v85
	v_mad_u64_u32 v[84:85], null, s3, v88, v[80:81]
	v_add_nc_u32_e32 v80, 0x708, v118
	v_add_co_u32 v85, vcc_lo, v68, v86
	v_mad_u64_u32 v[88:89], null, s3, v89, v[82:83]
	v_add_co_ci_u32_e32 v86, vcc_lo, v69, v87, vcc_lo
	v_mov_b32_e32 v82, v84
	v_mad_u64_u32 v[72:73], null, s2, v80, 0
	global_store_dwordx4 v[85:86], v[74:77], off
	v_lshlrev_b64 v[70:71], 4, v[101:102]
	v_lshlrev_b64 v[74:75], 4, v[81:82]
	v_add_nc_u32_e32 v81, 0x834, v118
	v_mov_b32_e32 v84, v88
	v_add_co_u32 v70, vcc_lo, v68, v70
	v_mad_u64_u32 v[78:79], null, s3, v80, v[73:74]
	v_mad_u64_u32 v[79:80], null, s2, v81, 0
	v_lshlrev_b64 v[76:77], 4, v[83:84]
	v_add_nc_u32_e32 v83, 0xc8, v208
	v_add_co_ci_u32_e32 v71, vcc_lo, v69, v71, vcc_lo
	v_add_co_u32 v74, vcc_lo, v68, v74
	v_mov_b32_e32 v73, v78
	v_add_nc_u32_e32 v78, 0x960, v118
	v_add_co_ci_u32_e32 v75, vcc_lo, v69, v75, vcc_lo
	v_add_co_u32 v76, vcc_lo, v68, v76
	v_mul_hi_u32 v84, 0x1b4e81b5, v83
	v_mad_u64_u32 v[80:81], null, s3, v81, v[80:81]
	v_add_co_ci_u32_e32 v77, vcc_lo, v69, v77, vcc_lo
	v_mad_u64_u32 v[81:82], null, s2, v78, 0
	global_store_dwordx4 v[70:71], v[64:67], off
	global_store_dwordx4 v[74:75], v[60:63], off
	;; [unrolled: 1-line block ×3, first 2 shown]
	v_add_nc_u32_e32 v63, 0xa8c, v118
	v_lshrrev_b32_e32 v64, 5, v84
	v_lshlrev_b64 v[48:49], 4, v[72:73]
	v_mov_b32_e32 v50, v82
	v_mad_u64_u32 v[60:61], null, s2, v63, 0
	v_mul_u32_u24_e32 v62, 0x12c, v64
	v_add_co_u32 v48, vcc_lo, v68, v48
	v_mad_u64_u32 v[50:51], null, s3, v78, v[50:51]
	v_sub_nc_u32_e32 v65, v83, v62
	v_mov_b32_e32 v51, v61
	v_lshlrev_b64 v[61:62], 4, v[79:80]
	v_add_co_ci_u32_e32 v49, vcc_lo, v69, v49, vcc_lo
	v_mov_b32_e32 v82, v50
	v_mad_u64_u32 v[50:51], null, s3, v63, v[51:52]
	v_mad_u32_u24 v63, 0xbb8, v64, v65
	v_add_co_u32 v61, vcc_lo, v68, v61
	v_add_co_ci_u32_e32 v62, vcc_lo, v69, v62, vcc_lo
	global_store_dwordx4 v[48:49], v[56:59], off
	v_mad_u64_u32 v[56:57], null, s2, v63, 0
	global_store_dwordx4 v[61:62], v[52:55], off
	v_mov_b32_e32 v61, v50
	v_add_nc_u32_e32 v55, 0x12c, v63
	v_lshlrev_b64 v[48:49], 4, v[81:82]
	v_add_nc_u32_e32 v62, 0x258, v63
	v_add_nc_u32_e32 v64, 0x384, v63
	v_lshlrev_b64 v[51:52], 4, v[60:61]
	v_mad_u64_u32 v[53:54], null, s2, v55, 0
	v_mov_b32_e32 v50, v57
	v_add_co_u32 v48, vcc_lo, v68, v48
	v_add_co_ci_u32_e32 v49, vcc_lo, v69, v49, vcc_lo
	v_mad_u64_u32 v[57:58], null, s3, v63, v[50:51]
	v_add_co_u32 v50, vcc_lo, v68, v51
	v_add_co_ci_u32_e32 v51, vcc_lo, v69, v52, vcc_lo
	v_mov_b32_e32 v52, v54
	v_mad_u64_u32 v[58:59], null, s2, v62, 0
	v_mad_u64_u32 v[60:61], null, s2, v64, 0
	;; [unrolled: 1-line block ×3, first 2 shown]
	global_store_dwordx4 v[48:49], v[44:47], off
	global_store_dwordx4 v[50:51], v[40:43], off
	v_mov_b32_e32 v44, v59
	v_lshlrev_b64 v[40:41], 4, v[56:57]
	v_add_nc_u32_e32 v49, 0x4b0, v63
	v_mad_u64_u32 v[42:43], null, s3, v62, v[44:45]
	v_lshlrev_b64 v[44:45], 4, v[53:54]
	v_mov_b32_e32 v43, v61
	v_add_co_u32 v40, vcc_lo, v68, v40
	v_add_co_ci_u32_e32 v41, vcc_lo, v69, v41, vcc_lo
	v_mad_u64_u32 v[46:47], null, s3, v64, v[43:44]
	v_mad_u64_u32 v[47:48], null, s2, v49, 0
	v_mov_b32_e32 v59, v42
	v_add_co_u32 v42, vcc_lo, v68, v44
	v_add_co_ci_u32_e32 v43, vcc_lo, v69, v45, vcc_lo
	v_mov_b32_e32 v61, v46
	global_store_dwordx4 v[40:41], v[24:27], off
	v_lshlrev_b64 v[25:26], 4, v[58:59]
	v_mov_b32_e32 v24, v48
	global_store_dwordx4 v[42:43], v[36:39], off
	v_lshlrev_b64 v[36:37], 4, v[60:61]
	v_add_nc_u32_e32 v40, 0x960, v63
	v_add_nc_u32_e32 v41, 0xa8c, v63
	v_mad_u64_u32 v[38:39], null, s3, v49, v[24:25]
	v_add_co_u32 v24, vcc_lo, v68, v25
	v_add_co_ci_u32_e32 v25, vcc_lo, v69, v26, vcc_lo
	v_add_nc_u32_e32 v39, 0x5dc, v63
	v_add_co_u32 v26, vcc_lo, v68, v36
	v_add_co_ci_u32_e32 v27, vcc_lo, v69, v37, vcc_lo
	v_mad_u64_u32 v[36:37], null, s2, v39, 0
	global_store_dwordx4 v[24:25], v[32:35], off
	v_add_nc_u32_e32 v34, 0x834, v63
	global_store_dwordx4 v[26:27], v[28:31], off
	v_add_nc_u32_e32 v33, 0x708, v63
	v_mov_b32_e32 v48, v38
	v_mad_u64_u32 v[29:30], null, s2, v34, 0
	v_mov_b32_e32 v28, v37
	v_mad_u64_u32 v[26:27], null, s2, v33, 0
	v_lshlrev_b64 v[24:25], 4, v[47:48]
	v_mad_u64_u32 v[31:32], null, s3, v39, v[28:29]
	v_mad_u64_u32 v[38:39], null, s2, v41, 0
	v_add_co_u32 v24, vcc_lo, v68, v24
	v_mad_u64_u32 v[27:28], null, s3, v33, v[27:28]
	v_mad_u64_u32 v[32:33], null, s2, v40, 0
	v_add_co_ci_u32_e32 v25, vcc_lo, v69, v25, vcc_lo
	v_mov_b32_e32 v37, v31
	v_mov_b32_e32 v28, v30
	global_store_dwordx4 v[24:25], v[20:23], off
	v_mov_b32_e32 v20, v33
	v_lshlrev_b64 v[21:22], 4, v[36:37]
	v_mad_u64_u32 v[34:35], null, s3, v34, v[28:29]
	v_mad_u64_u32 v[23:24], null, s3, v40, v[20:21]
	v_mov_b32_e32 v20, v39
	v_add_co_u32 v21, vcc_lo, v68, v21
	v_mov_b32_e32 v30, v34
	v_lshlrev_b64 v[24:25], 4, v[26:27]
	v_add_co_ci_u32_e32 v22, vcc_lo, v69, v22, vcc_lo
	v_mad_u64_u32 v[26:27], null, s3, v41, v[20:21]
	v_lshlrev_b64 v[27:28], 4, v[29:30]
	v_mov_b32_e32 v33, v23
	v_add_co_u32 v23, vcc_lo, v68, v24
	v_add_co_ci_u32_e32 v24, vcc_lo, v69, v25, vcc_lo
	v_mov_b32_e32 v39, v26
	v_lshlrev_b64 v[29:30], 4, v[32:33]
	v_add_co_u32 v25, vcc_lo, v68, v27
	v_add_co_ci_u32_e32 v26, vcc_lo, v69, v28, vcc_lo
	v_lshlrev_b64 v[27:28], 4, v[38:39]
	v_add_co_u32 v29, vcc_lo, v68, v29
	v_add_co_ci_u32_e32 v30, vcc_lo, v69, v30, vcc_lo
	v_add_co_u32 v27, vcc_lo, v68, v27
	v_add_co_ci_u32_e32 v28, vcc_lo, v69, v28, vcc_lo
	global_store_dwordx4 v[21:22], v[0:3], off
	global_store_dwordx4 v[23:24], v[16:19], off
	global_store_dwordx4 v[25:26], v[12:15], off
	global_store_dwordx4 v[29:30], v[8:11], off
	global_store_dwordx4 v[27:28], v[4:7], off
.LBB0_15:
	s_endpgm
	.section	.rodata,"a",@progbits
	.p2align	6, 0x0
	.amdhsa_kernel fft_rtc_fwd_len3000_factors_10_3_10_10_wgs_100_tpt_100_halfLds_dp_op_CI_CI_sbrr_dirReg
		.amdhsa_group_segment_fixed_size 0
		.amdhsa_private_segment_fixed_size 36
		.amdhsa_kernarg_size 104
		.amdhsa_user_sgpr_count 6
		.amdhsa_user_sgpr_private_segment_buffer 1
		.amdhsa_user_sgpr_dispatch_ptr 0
		.amdhsa_user_sgpr_queue_ptr 0
		.amdhsa_user_sgpr_kernarg_segment_ptr 1
		.amdhsa_user_sgpr_dispatch_id 0
		.amdhsa_user_sgpr_flat_scratch_init 0
		.amdhsa_user_sgpr_private_segment_size 0
		.amdhsa_wavefront_size32 1
		.amdhsa_uses_dynamic_stack 0
		.amdhsa_system_sgpr_private_segment_wavefront_offset 1
		.amdhsa_system_sgpr_workgroup_id_x 1
		.amdhsa_system_sgpr_workgroup_id_y 0
		.amdhsa_system_sgpr_workgroup_id_z 0
		.amdhsa_system_sgpr_workgroup_info 0
		.amdhsa_system_vgpr_workitem_id 0
		.amdhsa_next_free_vgpr 256
		.amdhsa_next_free_sgpr 40
		.amdhsa_reserve_vcc 1
		.amdhsa_reserve_flat_scratch 0
		.amdhsa_float_round_mode_32 0
		.amdhsa_float_round_mode_16_64 0
		.amdhsa_float_denorm_mode_32 3
		.amdhsa_float_denorm_mode_16_64 3
		.amdhsa_dx10_clamp 1
		.amdhsa_ieee_mode 1
		.amdhsa_fp16_overflow 0
		.amdhsa_workgroup_processor_mode 1
		.amdhsa_memory_ordered 1
		.amdhsa_forward_progress 0
		.amdhsa_shared_vgpr_count 0
		.amdhsa_exception_fp_ieee_invalid_op 0
		.amdhsa_exception_fp_denorm_src 0
		.amdhsa_exception_fp_ieee_div_zero 0
		.amdhsa_exception_fp_ieee_overflow 0
		.amdhsa_exception_fp_ieee_underflow 0
		.amdhsa_exception_fp_ieee_inexact 0
		.amdhsa_exception_int_div_zero 0
	.end_amdhsa_kernel
	.text
.Lfunc_end0:
	.size	fft_rtc_fwd_len3000_factors_10_3_10_10_wgs_100_tpt_100_halfLds_dp_op_CI_CI_sbrr_dirReg, .Lfunc_end0-fft_rtc_fwd_len3000_factors_10_3_10_10_wgs_100_tpt_100_halfLds_dp_op_CI_CI_sbrr_dirReg
                                        ; -- End function
	.section	.AMDGPU.csdata,"",@progbits
; Kernel info:
; codeLenInByte = 23876
; NumSgprs: 42
; NumVgprs: 256
; ScratchSize: 36
; MemoryBound: 1
; FloatMode: 240
; IeeeMode: 1
; LDSByteSize: 0 bytes/workgroup (compile time only)
; SGPRBlocks: 5
; VGPRBlocks: 31
; NumSGPRsForWavesPerEU: 42
; NumVGPRsForWavesPerEU: 256
; Occupancy: 4
; WaveLimiterHint : 1
; COMPUTE_PGM_RSRC2:SCRATCH_EN: 1
; COMPUTE_PGM_RSRC2:USER_SGPR: 6
; COMPUTE_PGM_RSRC2:TRAP_HANDLER: 0
; COMPUTE_PGM_RSRC2:TGID_X_EN: 1
; COMPUTE_PGM_RSRC2:TGID_Y_EN: 0
; COMPUTE_PGM_RSRC2:TGID_Z_EN: 0
; COMPUTE_PGM_RSRC2:TIDIG_COMP_CNT: 0
	.text
	.p2alignl 6, 3214868480
	.fill 48, 4, 3214868480
	.type	__hip_cuid_7839307a2de0deb4,@object ; @__hip_cuid_7839307a2de0deb4
	.section	.bss,"aw",@nobits
	.globl	__hip_cuid_7839307a2de0deb4
__hip_cuid_7839307a2de0deb4:
	.byte	0                               ; 0x0
	.size	__hip_cuid_7839307a2de0deb4, 1

	.ident	"AMD clang version 19.0.0git (https://github.com/RadeonOpenCompute/llvm-project roc-6.4.0 25133 c7fe45cf4b819c5991fe208aaa96edf142730f1d)"
	.section	".note.GNU-stack","",@progbits
	.addrsig
	.addrsig_sym __hip_cuid_7839307a2de0deb4
	.amdgpu_metadata
---
amdhsa.kernels:
  - .args:
      - .actual_access:  read_only
        .address_space:  global
        .offset:         0
        .size:           8
        .value_kind:     global_buffer
      - .offset:         8
        .size:           8
        .value_kind:     by_value
      - .actual_access:  read_only
        .address_space:  global
        .offset:         16
        .size:           8
        .value_kind:     global_buffer
      - .actual_access:  read_only
        .address_space:  global
        .offset:         24
        .size:           8
        .value_kind:     global_buffer
      - .actual_access:  read_only
        .address_space:  global
        .offset:         32
        .size:           8
        .value_kind:     global_buffer
      - .offset:         40
        .size:           8
        .value_kind:     by_value
      - .actual_access:  read_only
        .address_space:  global
        .offset:         48
        .size:           8
        .value_kind:     global_buffer
      - .actual_access:  read_only
        .address_space:  global
        .offset:         56
        .size:           8
        .value_kind:     global_buffer
      - .offset:         64
        .size:           4
        .value_kind:     by_value
      - .actual_access:  read_only
        .address_space:  global
        .offset:         72
        .size:           8
        .value_kind:     global_buffer
      - .actual_access:  read_only
        .address_space:  global
        .offset:         80
        .size:           8
        .value_kind:     global_buffer
      - .actual_access:  read_only
        .address_space:  global
        .offset:         88
        .size:           8
        .value_kind:     global_buffer
      - .actual_access:  write_only
        .address_space:  global
        .offset:         96
        .size:           8
        .value_kind:     global_buffer
    .group_segment_fixed_size: 0
    .kernarg_segment_align: 8
    .kernarg_segment_size: 104
    .language:       OpenCL C
    .language_version:
      - 2
      - 0
    .max_flat_workgroup_size: 100
    .name:           fft_rtc_fwd_len3000_factors_10_3_10_10_wgs_100_tpt_100_halfLds_dp_op_CI_CI_sbrr_dirReg
    .private_segment_fixed_size: 36
    .sgpr_count:     42
    .sgpr_spill_count: 0
    .symbol:         fft_rtc_fwd_len3000_factors_10_3_10_10_wgs_100_tpt_100_halfLds_dp_op_CI_CI_sbrr_dirReg.kd
    .uniform_work_group_size: 1
    .uses_dynamic_stack: false
    .vgpr_count:     256
    .vgpr_spill_count: 8
    .wavefront_size: 32
    .workgroup_processor_mode: 1
amdhsa.target:   amdgcn-amd-amdhsa--gfx1030
amdhsa.version:
  - 1
  - 2
...

	.end_amdgpu_metadata
